;; amdgpu-corpus repo=ROCm/rocFFT kind=compiled arch=gfx950 opt=O3
	.text
	.amdgcn_target "amdgcn-amd-amdhsa--gfx950"
	.amdhsa_code_object_version 6
	.protected	bluestein_single_back_len1360_dim1_half_op_CI_CI ; -- Begin function bluestein_single_back_len1360_dim1_half_op_CI_CI
	.globl	bluestein_single_back_len1360_dim1_half_op_CI_CI
	.p2align	8
	.type	bluestein_single_back_len1360_dim1_half_op_CI_CI,@function
bluestein_single_back_len1360_dim1_half_op_CI_CI: ; @bluestein_single_back_len1360_dim1_half_op_CI_CI
; %bb.0:
	s_load_dwordx4 s[8:11], s[0:1], 0x28
	v_mul_u32_u24_e32 v1, 0x304, v0
	v_lshrrev_b32_e32 v2, 16, v1
	v_mad_u64_u32 v[36:37], s[2:3], s2, 3, v[2:3]
	v_mov_b32_e32 v37, 0
	s_waitcnt lgkmcnt(0)
	v_cmp_gt_u64_e32 vcc, s[8:9], v[36:37]
	s_and_saveexec_b64 s[2:3], vcc
	s_cbranch_execz .LBB0_23
; %bb.1:
	v_mul_lo_u16_e32 v1, 0x55, v2
	s_mov_b32 s2, 0xaaaaaaab
	v_sub_u16_e32 v210, v0, v1
	v_mul_hi_u32 v0, v36, s2
	s_load_dwordx2 s[12:13], s[0:1], 0x0
	s_load_dwordx2 s[14:15], s[0:1], 0x38
	v_lshrrev_b32_e32 v0, 1, v0
	v_lshl_add_u32 v0, v0, 1, v0
	v_sub_u32_e32 v0, v36, v0
	v_mul_u32_u24_e32 v30, 0x550, v0
	s_movk_i32 s2, 0x50
	v_cmp_gt_u16_e32 vcc, s2, v210
	v_lshlrev_b32_e32 v34, 2, v210
	v_lshlrev_b32_e32 v207, 2, v30
	s_and_saveexec_b64 s[8:9], vcc
	s_cbranch_execz .LBB0_3
; %bb.2:
	s_load_dwordx2 s[2:3], s[0:1], 0x18
	v_mov_b32_e32 v0, s10
	v_mov_b32_e32 v1, s11
	;; [unrolled: 1-line block ×3, first 2 shown]
	s_waitcnt lgkmcnt(0)
	global_load_dword v12, v34, s[12:13]
	s_load_dwordx4 s[4:7], s[2:3], 0x0
	v_or_b32_e32 v26, 0x500, v210
	v_mov_b32_e32 v25, 0x280
	v_lshl_add_u32 v21, v210, 2, v207
	v_add_u32_e32 v22, v207, v34
	s_waitcnt lgkmcnt(0)
	v_mad_u64_u32 v[2:3], s[2:3], s6, v36, 0
	v_mad_u64_u32 v[4:5], s[2:3], s4, v210, 0
	v_mov_b32_e32 v6, v3
	v_mov_b32_e32 v8, v5
	v_mad_u64_u32 v[6:7], s[2:3], s7, v36, v[6:7]
	v_mov_b32_e32 v3, v6
	v_mad_u64_u32 v[6:7], s[2:3], s5, v210, v[8:9]
	v_mov_b32_e32 v5, v6
	v_lshl_add_u64 v[0:1], v[2:3], 2, v[0:1]
	v_lshl_add_u64 v[2:3], v[4:5], 2, v[0:1]
	global_load_dword v10, v[2:3], off
	v_mad_u64_u32 v[2:3], s[2:3], s4, v11, v[2:3]
	s_mul_i32 s6, s5, 0x140
	v_add_u32_e32 v3, s6, v3
	global_load_dword v13, v[2:3], off
	global_load_dword v14, v34, s[12:13] offset:320
	v_mad_u64_u32 v[2:3], s[2:3], s4, v11, v[2:3]
	v_add_u32_e32 v3, s6, v3
	global_load_dword v15, v[2:3], off
	global_load_dword v16, v34, s[12:13] offset:640
	v_mad_u64_u32 v[2:3], s[2:3], s4, v11, v[2:3]
	;; [unrolled: 4-line block ×3, first 2 shown]
	v_add_u32_e32 v3, s6, v3
	global_load_dword v19, v[2:3], off
	global_load_dword v20, v34, s[12:13] offset:1280
	v_or_b32_e32 v9, 0x280, v210
	v_lshlrev_b32_e32 v6, 2, v26
	global_load_dword v23, v34, s[12:13] offset:1600
	global_load_dword v24, v34, s[12:13] offset:1920
	global_load_dword v27, v6, s[12:13]
	v_mad_u64_u32 v[6:7], s[2:3], s4, v9, 0
	v_mov_b32_e32 v8, v7
	v_mad_u64_u32 v[8:9], s[2:3], s5, v9, v[8:9]
	v_mov_b32_e32 v7, v8
	v_mad_u64_u32 v[2:3], s[2:3], s4, v11, v[2:3]
	v_lshl_add_u64 v[6:7], v[6:7], 2, v[0:1]
	v_add_u32_e32 v3, s6, v3
	global_load_dword v6, v[6:7], off
	s_mul_i32 s7, s5, 0x280
	global_load_dword v7, v[2:3], off
	v_mad_u64_u32 v[2:3], s[2:3], s4, v11, v[2:3]
	v_add_u32_e32 v3, s6, v3
	global_load_dword v8, v[2:3], off
	v_mad_u64_u32 v[2:3], s[2:3], s4, v11, v[2:3]
	v_add_u32_e32 v3, s6, v3
	;; [unrolled: 3-line block ×3, first 2 shown]
	v_mov_b32_e32 v35, 0
	v_lshl_add_u64 v[4:5], s[12:13], 0, v[34:35]
	s_waitcnt vmcnt(15)
	v_lshrrev_b32_e32 v25, 16, v10
	v_mul_f16_sdwa v28, v12, v10 dst_sel:DWORD dst_unused:UNUSED_PAD src0_sel:WORD_1 src1_sel:DWORD
	v_mul_f16_sdwa v29, v12, v25 dst_sel:DWORD dst_unused:UNUSED_PAD src0_sel:WORD_1 src1_sel:DWORD
	v_fma_f16 v25, v12, v25, -v28
	v_fma_f16 v10, v12, v10, v29
	s_waitcnt vmcnt(14)
	v_lshrrev_b32_e32 v12, 16, v13
	s_waitcnt vmcnt(13)
	v_mul_f16_sdwa v28, v14, v13 dst_sel:DWORD dst_unused:UNUSED_PAD src0_sel:WORD_1 src1_sel:DWORD
	v_pack_b32_f16 v10, v10, v25
	v_mul_f16_sdwa v25, v14, v12 dst_sel:DWORD dst_unused:UNUSED_PAD src0_sel:WORD_1 src1_sel:DWORD
	v_fma_f16 v12, v14, v12, -v28
	ds_write_b32 v21, v10
	v_fma_f16 v10, v14, v13, v25
	s_waitcnt vmcnt(12)
	v_lshrrev_b32_e32 v13, 16, v15
	global_load_dword v21, v34, s[12:13] offset:2240
	s_waitcnt vmcnt(12)
	v_mul_f16_sdwa v14, v16, v15 dst_sel:DWORD dst_unused:UNUSED_PAD src0_sel:WORD_1 src1_sel:DWORD
	v_pack_b32_f16 v10, v10, v12
	v_mul_f16_sdwa v12, v16, v13 dst_sel:DWORD dst_unused:UNUSED_PAD src0_sel:WORD_1 src1_sel:DWORD
	v_fma_f16 v13, v16, v13, -v14
	v_fma_f16 v12, v16, v15, v12
	v_pack_b32_f16 v12, v12, v13
	global_load_dword v13, v34, s[12:13] offset:2560
	s_waitcnt vmcnt(12)
	v_lshrrev_b32_e32 v14, 16, v17
	s_waitcnt vmcnt(11)
	v_mul_f16_sdwa v15, v18, v17 dst_sel:DWORD dst_unused:UNUSED_PAD src0_sel:WORD_1 src1_sel:DWORD
	v_mul_f16_sdwa v16, v18, v14 dst_sel:DWORD dst_unused:UNUSED_PAD src0_sel:WORD_1 src1_sel:DWORD
	v_fma_f16 v14, v18, v14, -v15
	ds_write2_b32 v22, v10, v12 offset0:80 offset1:160
	v_fma_f16 v10, v18, v17, v16
	v_pack_b32_f16 v10, v10, v14
	global_load_dword v14, v[2:3], off
	global_load_dword v15, v34, s[12:13] offset:2880
	v_mad_u64_u32 v[2:3], s[2:3], s4, v11, v[2:3]
	v_add_u32_e32 v3, s6, v3
	global_load_dword v17, v[2:3], off
	global_load_dword v18, v34, s[12:13] offset:3200
	v_mad_u64_u32 v[2:3], s[2:3], s4, v11, v[2:3]
	v_add_u32_e32 v3, s6, v3
	;; [unrolled: 4-line block ×3, first 2 shown]
	global_load_dword v29, v[2:3], off
	global_load_dword v31, v34, s[12:13] offset:3840
	v_mad_u64_u32 v[2:3], s[2:3], s4, v11, v[2:3]
	s_movk_i32 s2, 0x1000
	v_add_u32_e32 v3, s6, v3
	v_add_co_u32_e64 v4, s[2:3], s2, v4
	s_waitcnt vmcnt(18)
	v_lshrrev_b32_e32 v12, 16, v19
	global_load_dword v35, v[2:3], off
	v_addc_co_u32_e64 v5, s[2:3], 0, v5, s[2:3]
	s_waitcnt vmcnt(18)
	v_mul_f16_sdwa v16, v20, v12 dst_sel:DWORD dst_unused:UNUSED_PAD src0_sel:WORD_1 src1_sel:DWORD
	global_load_dword v37, v[4:5], off offset:64
	v_mad_u64_u32 v[2:3], s[2:3], s4, v11, v[2:3]
	v_fma_f16 v16, v20, v19, v16
	v_mul_f16_sdwa v19, v20, v19 dst_sel:DWORD dst_unused:UNUSED_PAD src0_sel:WORD_1 src1_sel:DWORD
	v_add_u32_e32 v3, s6, v3
	v_fma_f16 v12, v20, v12, -v19
	global_load_dword v19, v[2:3], off
	global_load_dword v20, v[4:5], off offset:384
	v_mad_u64_u32 v[2:3], s[2:3], s4, v11, v[2:3]
	v_add_u32_e32 v3, s6, v3
	global_load_dword v11, v[2:3], off
	global_load_dword v38, v[4:5], off offset:704
	v_mad_u64_u32 v[2:3], s[2:3], s4, v26, 0
	v_mov_b32_e32 v4, v3
	v_mad_u64_u32 v[4:5], s[2:3], s5, v26, v[4:5]
	v_mov_b32_e32 v3, v4
	v_lshl_add_u64 v[0:1], v[2:3], 2, v[0:1]
	global_load_dword v0, v[0:1], off
	v_pack_b32_f16 v1, v16, v12
	v_add_u32_e32 v2, 0x200, v22
	ds_write2_b32 v2, v10, v1 offset0:112 offset1:192
	s_waitcnt vmcnt(19)
	v_lshrrev_b32_e32 v1, 16, v7
	v_mul_f16_sdwa v2, v23, v1 dst_sel:DWORD dst_unused:UNUSED_PAD src0_sel:WORD_1 src1_sel:DWORD
	v_mul_f16_sdwa v3, v23, v7 dst_sel:DWORD dst_unused:UNUSED_PAD src0_sel:WORD_1 src1_sel:DWORD
	v_fma_f16 v2, v23, v7, v2
	v_fma_f16 v1, v23, v1, -v3
	v_pack_b32_f16 v1, v2, v1
	s_waitcnt vmcnt(18)
	v_lshrrev_b32_e32 v2, 16, v8
	v_mul_f16_sdwa v3, v24, v2 dst_sel:DWORD dst_unused:UNUSED_PAD src0_sel:WORD_1 src1_sel:DWORD
	v_mul_f16_sdwa v4, v24, v8 dst_sel:DWORD dst_unused:UNUSED_PAD src0_sel:WORD_1 src1_sel:DWORD
	v_fma_f16 v3, v24, v8, v3
	v_fma_f16 v2, v24, v2, -v4
	v_pack_b32_f16 v2, v3, v2
	v_add_u32_e32 v3, 0x400, v22
	ds_write2_b32 v3, v1, v2 offset0:144 offset1:224
	s_waitcnt vmcnt(17)
	v_lshrrev_b32_e32 v1, 16, v9
	s_waitcnt vmcnt(16)
	v_mul_f16_sdwa v2, v21, v1 dst_sel:DWORD dst_unused:UNUSED_PAD src0_sel:WORD_1 src1_sel:DWORD
	v_mul_f16_sdwa v3, v21, v9 dst_sel:DWORD dst_unused:UNUSED_PAD src0_sel:WORD_1 src1_sel:DWORD
	v_fma_f16 v2, v21, v9, v2
	v_fma_f16 v1, v21, v1, -v3
	v_pack_b32_f16 v1, v2, v1
	v_lshrrev_b32_e32 v2, 16, v6
	s_waitcnt vmcnt(15)
	v_mul_f16_sdwa v3, v13, v2 dst_sel:DWORD dst_unused:UNUSED_PAD src0_sel:WORD_1 src1_sel:DWORD
	v_mul_f16_sdwa v4, v13, v6 dst_sel:DWORD dst_unused:UNUSED_PAD src0_sel:WORD_1 src1_sel:DWORD
	v_fma_f16 v3, v13, v6, v3
	v_fma_f16 v2, v13, v2, -v4
	v_pack_b32_f16 v2, v3, v2
	v_add_u32_e32 v3, 0x800, v22
	ds_write2_b32 v3, v1, v2 offset0:48 offset1:128
	s_waitcnt vmcnt(14)
	v_lshrrev_b32_e32 v1, 16, v14
	s_waitcnt vmcnt(13)
	v_mul_f16_sdwa v2, v15, v1 dst_sel:DWORD dst_unused:UNUSED_PAD src0_sel:WORD_1 src1_sel:DWORD
	v_mul_f16_sdwa v3, v15, v14 dst_sel:DWORD dst_unused:UNUSED_PAD src0_sel:WORD_1 src1_sel:DWORD
	v_fma_f16 v2, v15, v14, v2
	v_fma_f16 v1, v15, v1, -v3
	v_pack_b32_f16 v1, v2, v1
	s_waitcnt vmcnt(12)
	v_lshrrev_b32_e32 v2, 16, v17
	s_waitcnt vmcnt(11)
	v_mul_f16_sdwa v3, v18, v2 dst_sel:DWORD dst_unused:UNUSED_PAD src0_sel:WORD_1 src1_sel:DWORD
	v_mul_f16_sdwa v4, v18, v17 dst_sel:DWORD dst_unused:UNUSED_PAD src0_sel:WORD_1 src1_sel:DWORD
	v_fma_f16 v3, v18, v17, v3
	v_fma_f16 v2, v18, v2, -v4
	v_pack_b32_f16 v2, v3, v2
	v_add_u32_e32 v3, 0xa00, v22
	ds_write2_b32 v3, v1, v2 offset0:80 offset1:160
	s_waitcnt vmcnt(10)
	v_lshrrev_b32_e32 v1, 16, v25
	s_waitcnt vmcnt(9)
	v_mul_f16_sdwa v2, v28, v1 dst_sel:DWORD dst_unused:UNUSED_PAD src0_sel:WORD_1 src1_sel:DWORD
	v_mul_f16_sdwa v3, v28, v25 dst_sel:DWORD dst_unused:UNUSED_PAD src0_sel:WORD_1 src1_sel:DWORD
	v_fma_f16 v2, v28, v25, v2
	v_fma_f16 v1, v28, v1, -v3
	v_pack_b32_f16 v1, v2, v1
	s_waitcnt vmcnt(8)
	v_lshrrev_b32_e32 v2, 16, v29
	s_waitcnt vmcnt(7)
	v_mul_f16_sdwa v3, v31, v2 dst_sel:DWORD dst_unused:UNUSED_PAD src0_sel:WORD_1 src1_sel:DWORD
	v_mul_f16_sdwa v4, v31, v29 dst_sel:DWORD dst_unused:UNUSED_PAD src0_sel:WORD_1 src1_sel:DWORD
	v_fma_f16 v3, v31, v29, v3
	v_fma_f16 v2, v31, v2, -v4
	v_pack_b32_f16 v2, v3, v2
	v_add_u32_e32 v3, 0xc00, v22
	ds_write2_b32 v3, v1, v2 offset0:112 offset1:192
	s_waitcnt vmcnt(6)
	v_lshrrev_b32_e32 v1, 16, v35
	s_waitcnt vmcnt(5)
	v_mul_f16_sdwa v2, v37, v1 dst_sel:DWORD dst_unused:UNUSED_PAD src0_sel:WORD_1 src1_sel:DWORD
	v_mul_f16_sdwa v3, v37, v35 dst_sel:DWORD dst_unused:UNUSED_PAD src0_sel:WORD_1 src1_sel:DWORD
	v_fma_f16 v2, v37, v35, v2
	v_fma_f16 v1, v37, v1, -v3
	v_pack_b32_f16 v1, v2, v1
	s_waitcnt vmcnt(4)
	v_lshrrev_b32_e32 v2, 16, v19
	s_waitcnt vmcnt(3)
	v_mul_f16_sdwa v3, v20, v2 dst_sel:DWORD dst_unused:UNUSED_PAD src0_sel:WORD_1 src1_sel:DWORD
	v_mul_f16_sdwa v4, v20, v19 dst_sel:DWORD dst_unused:UNUSED_PAD src0_sel:WORD_1 src1_sel:DWORD
	v_fma_f16 v3, v20, v19, v3
	v_fma_f16 v2, v20, v2, -v4
	v_pack_b32_f16 v2, v3, v2
	v_add_u32_e32 v3, 0x1000, v22
	ds_write2_b32 v3, v1, v2 offset0:16 offset1:96
	s_waitcnt vmcnt(2)
	v_lshrrev_b32_e32 v1, 16, v11
	s_waitcnt vmcnt(1)
	v_mul_f16_sdwa v2, v38, v1 dst_sel:DWORD dst_unused:UNUSED_PAD src0_sel:WORD_1 src1_sel:DWORD
	v_mul_f16_sdwa v3, v38, v11 dst_sel:DWORD dst_unused:UNUSED_PAD src0_sel:WORD_1 src1_sel:DWORD
	v_fma_f16 v2, v38, v11, v2
	v_fma_f16 v1, v38, v1, -v3
	v_pack_b32_f16 v1, v2, v1
	s_waitcnt vmcnt(0)
	v_lshrrev_b32_e32 v2, 16, v0
	v_mul_f16_sdwa v3, v27, v2 dst_sel:DWORD dst_unused:UNUSED_PAD src0_sel:WORD_1 src1_sel:DWORD
	v_fma_f16 v3, v27, v0, v3
	v_mul_f16_sdwa v0, v27, v0 dst_sel:DWORD dst_unused:UNUSED_PAD src0_sel:WORD_1 src1_sel:DWORD
	v_fma_f16 v0, v27, v2, -v0
	v_pack_b32_f16 v0, v3, v0
	v_add_u32_e32 v2, 0x1200, v22
	ds_write2_b32 v2, v1, v0 offset0:48 offset1:128
.LBB0_3:
	s_or_b64 exec, exec, s[8:9]
	v_mov_b32_e32 v0, 0
	s_waitcnt lgkmcnt(0)
	s_barrier
	s_waitcnt lgkmcnt(0)
                                        ; implicit-def: $vgpr41
                                        ; implicit-def: $vgpr26
                                        ; implicit-def: $vgpr15
                                        ; implicit-def: $vgpr27
                                        ; implicit-def: $vgpr29
                                        ; implicit-def: $vgpr13
                                        ; implicit-def: $vgpr37
                                        ; implicit-def: $vgpr40
                                        ; implicit-def: $vgpr11
                                        ; implicit-def: $vgpr28
                                        ; implicit-def: $vgpr21
                                        ; implicit-def: $vgpr9
                                        ; implicit-def: $vgpr22
                                        ; implicit-def: $vgpr23
                                        ; implicit-def: $vgpr7
                                        ; implicit-def: $vgpr24
                                        ; implicit-def: $vgpr25
                                        ; implicit-def: $vgpr5
                                        ; implicit-def: $vgpr16
                                        ; implicit-def: $vgpr17
                                        ; implicit-def: $vgpr3
                                        ; implicit-def: $vgpr18
                                        ; implicit-def: $vgpr19
                                        ; implicit-def: $vgpr20
	s_and_saveexec_b64 s[2:3], vcc
	s_cbranch_execz .LBB0_5
; %bb.4:
	v_lshl_add_u32 v26, v30, 2, v34
	v_add_u32_e32 v4, 0x400, v26
	v_add_u32_e32 v6, 0x600, v26
	;; [unrolled: 1-line block ×6, first 2 shown]
	ds_read2_b32 v[0:1], v26 offset1:80
	ds_read2_b32 v[2:3], v26 offset0:160 offset1:240
	ds_read2_b32 v[4:5], v4 offset0:64 offset1:144
	;; [unrolled: 1-line block ×7, first 2 shown]
	ds_read_b32 v41, v26 offset:5120
	s_waitcnt lgkmcnt(8)
	v_lshrrev_b32_e32 v20, 16, v1
	s_waitcnt lgkmcnt(7)
	v_lshrrev_b32_e32 v19, 16, v2
	v_lshrrev_b32_e32 v18, 16, v3
	s_waitcnt lgkmcnt(6)
	v_lshrrev_b32_e32 v17, 16, v4
	;; [unrolled: 3-line block ×8, first 2 shown]
.LBB0_5:
	s_or_b64 exec, exec, s[2:3]
	v_sub_f16_e32 v103, v20, v26
	v_add_f16_e32 v56, v41, v1
	v_sub_f16_e32 v64, v1, v41
	s_movk_i32 s6, 0x3b76
	v_mul_f16_e32 v42, 0xb5c8, v103
	v_sub_f16_e32 v104, v19, v27
	v_add_f16_e32 v57, v26, v20
	v_mul_f16_e32 v44, 0xb5c8, v64
	v_fma_f16 v31, v56, s6, v42
	s_movk_i32 s7, 0x39e9
	v_add_f16_e32 v62, v15, v2
	v_sub_f16_e32 v72, v2, v15
	v_mul_f16_e32 v43, 0xb964, v104
	v_add_f16_e32 v31, v31, v0
	v_fma_f16 v35, v57, s6, -v44
	v_mul_f16_e32 v47, 0xb964, v103
	v_add_f16_e32 v63, v27, v19
	v_mul_f16_e32 v45, 0xb964, v72
	v_fma_f16 v46, v62, s7, v43
	v_add_f16_sdwa v35, v35, v0 dst_sel:DWORD dst_unused:UNUSED_PAD src0_sel:DWORD src1_sel:WORD_1
	v_mul_f16_e32 v51, 0xb964, v64
	v_fma_f16 v38, v56, s7, v47
	v_add_f16_e32 v31, v46, v31
	v_fma_f16 v46, v63, s7, -v45
	s_movk_i32 s8, 0x2de8
	v_mul_f16_e32 v50, 0xbbf7, v104
	v_add_f16_e32 v38, v38, v0
	v_fma_f16 v39, v57, s7, -v51
	v_add_f16_e32 v35, v46, v35
	v_mul_f16_e32 v55, 0xbbf7, v72
	v_fma_f16 v46, v62, s8, v50
	v_add_f16_sdwa v39, v39, v0 dst_sel:DWORD dst_unused:UNUSED_PAD src0_sel:DWORD src1_sel:WORD_1
	v_add_f16_e32 v38, v46, v38
	v_fma_f16 v46, v63, s8, -v55
	v_sub_f16_e32 v105, v18, v29
	v_add_f16_e32 v39, v46, v39
	v_add_f16_e32 v65, v14, v3
	v_sub_f16_e32 v78, v3, v14
	s_movk_i32 s9, 0x3722
	v_mul_f16_e32 v46, 0xbb29, v105
	v_add_f16_e32 v66, v29, v18
	v_mul_f16_e32 v48, 0xbb29, v78
	v_fma_f16 v49, v65, s9, v46
	v_add_f16_e32 v31, v49, v31
	v_fma_f16 v49, v66, s9, -v48
	s_mov_b32 s10, 0xb8d2
	v_mul_f16_e32 v53, 0xba62, v105
	v_add_f16_e32 v35, v49, v35
	v_fma_f16 v49, v65, s10, v53
	v_mul_f16_e32 v60, 0xba62, v78
	v_add_f16_e32 v38, v49, v38
	v_fma_f16 v49, v66, s10, -v60
	v_sub_f16_e32 v106, v17, v37
	v_add_f16_e32 v39, v49, v39
	v_add_f16_e32 v71, v13, v4
	v_mul_f16_e32 v49, 0xbbf7, v106
	v_fma_f16 v52, v71, s8, v49
	v_sub_f16_e32 v86, v4, v13
	v_add_f16_e32 v31, v52, v31
	v_add_f16_e32 v74, v37, v17
	v_mul_f16_e32 v52, 0xbbf7, v86
	v_fma_f16 v54, v74, s8, -v52
	s_mov_b32 s11, 0xbbdd
	v_mul_f16_e32 v58, 0xb1e1, v106
	v_add_f16_e32 v35, v54, v35
	v_fma_f16 v54, v71, s11, v58
	v_mul_f16_e32 v67, 0xb1e1, v86
	v_add_f16_e32 v38, v54, v38
	v_fma_f16 v54, v74, s11, -v67
	v_sub_f16_e32 v107, v16, v40
	v_add_f16_e32 v39, v54, v39
	s_mov_b32 s17, 0xb461
	v_add_f16_e32 v79, v12, v5
	v_mul_f16_e32 v54, 0xbbb2, v107
	v_sub_f16_e32 v93, v5, v12
	v_fma_f16 v59, v79, s17, v54
	v_add_f16_e32 v80, v40, v16
	v_mul_f16_e32 v61, 0xbbb2, v93
	v_add_f16_e32 v31, v59, v31
	v_fma_f16 v59, v80, s17, -v61
	s_mov_b32 s16, 0xbacd
	v_mul_f16_e32 v70, 0x3836, v107
	v_add_f16_e32 v35, v59, v35
	v_fma_f16 v59, v79, s16, v70
	v_mul_f16_e32 v77, 0x3836, v93
	v_add_f16_e32 v38, v59, v38
	v_fma_f16 v59, v80, s16, -v77
	v_sub_f16_e32 v108, v25, v28
	v_add_f16_e32 v39, v59, v39
	v_add_f16_e32 v84, v11, v6
	v_mul_f16_e32 v59, 0xba62, v108
	v_sub_f16_e32 v97, v6, v11
	v_fma_f16 v68, v84, s10, v59
	v_add_f16_e32 v85, v28, v25
	v_mul_f16_e32 v69, 0xba62, v97
	v_add_f16_e32 v31, v68, v31
	v_fma_f16 v68, v85, s10, -v69
	v_mul_f16_e32 v75, 0x3bb2, v108
	v_add_f16_e32 v35, v68, v35
	v_fma_f16 v68, v84, s17, v75
	v_mul_f16_e32 v82, 0x3bb2, v97
	v_add_f16_e32 v38, v68, v38
	v_fma_f16 v68, v85, s17, -v82
	v_sub_f16_e32 v109, v24, v21
	v_add_f16_e32 v39, v68, v39
	v_add_f16_e32 v87, v10, v7
	v_mul_f16_e32 v68, 0xb836, v109
	v_sub_f16_e32 v99, v7, v10
	v_fma_f16 v73, v87, s16, v68
	v_add_f16_e32 v91, v21, v24
	v_mul_f16_e32 v76, 0xb836, v99
	v_add_f16_e32 v31, v73, v31
	v_fma_f16 v73, v91, s16, -v76
	v_mul_f16_e32 v83, 0x3b29, v109
	v_add_f16_e32 v35, v73, v35
	v_fma_f16 v73, v87, s9, v83
	v_mul_f16_e32 v90, 0x3b29, v99
	v_sub_f16_e32 v110, v23, v22
	v_add_f16_e32 v88, v73, v38
	v_fma_f16 v38, v91, s9, -v90
	v_add_f16_e32 v92, v9, v8
	v_mul_f16_e32 v73, 0xb1e1, v110
	v_sub_f16_e32 v100, v8, v9
	s_load_dwordx2 s[4:5], s[0:1], 0x20
	s_load_dwordx2 s[2:3], s[0:1], 0x8
	v_add_f16_e32 v96, v38, v39
	v_fma_f16 v38, v92, s11, v73
	v_add_f16_e32 v94, v22, v23
	v_mul_f16_e32 v81, 0xb1e1, v100
	v_add_f16_e32 v38, v38, v31
	v_fma_f16 v31, v94, s11, -v81
	v_mul_f16_e32 v89, 0x35c8, v110
	v_mul_f16_e32 v95, 0x35c8, v100
	v_add_f16_e32 v39, v31, v35
	v_fma_f16 v31, v92, s6, v89
	v_fma_f16 v35, v94, s6, -v95
	v_add_f16_e32 v31, v31, v88
	v_add_f16_e32 v35, v35, v96
	s_mov_b32 s19, 0xb5c8
	s_mov_b32 s30, 0xb964
	;; [unrolled: 1-line block ×7, first 2 shown]
	s_movk_i32 s26, 0x3836
	s_movk_i32 s21, 0x3bb2
	s_mov_b32 s20, 0xb836
	s_movk_i32 s31, 0x3b29
	s_movk_i32 s25, 0x35c8
	s_waitcnt lgkmcnt(0)
	s_barrier
	s_and_saveexec_b64 s[0:1], vcc
	s_cbranch_execz .LBB0_7
; %bb.6:
	v_mul_f16_e32 v111, 0x3722, v57
	v_fma_f16 v88, v64, s31, v111
	v_mul_f16_e32 v112, 0xb8d2, v63
	s_movk_i32 s28, 0x3a62
	v_add_f16_sdwa v88, v88, v0 dst_sel:DWORD dst_unused:UNUSED_PAD src0_sel:DWORD src1_sel:WORD_1
	v_fma_f16 v96, v72, s28, v112
	v_mul_f16_e32 v113, 0xbbdd, v66
	v_add_f16_e32 v88, v96, v88
	v_fma_f16 v96, v78, s24, v113
	v_mul_f16_e32 v114, 0xb461, v74
	v_add_f16_e32 v88, v96, v88
	;; [unrolled: 3-line block ×4, first 2 shown]
	v_fma_f16 v96, v97, s25, v116
	v_mul_f16_e32 v117, 0x2de8, v91
	s_movk_i32 s33, 0x3bf7
	v_add_f16_e32 v88, v96, v88
	v_fma_f16 v96, v99, s33, v117
	v_mul_f16_e32 v118, 0xbacd, v94
	v_add_f16_e32 v88, v96, v88
	v_fma_f16 v96, v100, s26, v118
	v_mul_f16_e32 v119, 0xbb29, v103
	;; [unrolled: 3-line block ×10, first 2 shown]
	s_movk_i32 s29, 0x31e1
	v_add_f16_e32 v96, v98, v96
	v_fma_f16 v98, v64, s33, v127
	v_mul_f16_e32 v128, 0xbbdd, v63
	v_add_f16_sdwa v98, v98, v0 dst_sel:DWORD dst_unused:UNUSED_PAD src0_sel:DWORD src1_sel:WORD_1
	v_fma_f16 v101, v72, s29, v128
	v_mul_f16_e32 v129, 0xb461, v66
	v_add_f16_e32 v98, v101, v98
	v_fma_f16 v101, v78, s27, v129
	v_mul_f16_e32 v130, 0x3b76, v74
	v_add_f16_e32 v98, v101, v98
	;; [unrolled: 3-line block ×15, first 2 shown]
	v_fma_f16 v102, v64, s21, v143
	v_mul_f16_e32 v144, 0xbacd, v63
	v_add_f16_sdwa v102, v102, v0 dst_sel:DWORD dst_unused:UNUSED_PAD src0_sel:DWORD src1_sel:WORD_1
	v_fma_f16 v145, v72, s20, v144
	v_add_f16_e32 v102, v145, v102
	v_mul_f16_e32 v145, 0x39e9, v66
	v_fma_f16 v146, v78, s30, v145
	v_add_f16_e32 v102, v146, v102
	v_mul_f16_e32 v146, 0x3722, v74
	;; [unrolled: 3-line block ×7, first 2 shown]
	v_fma_f16 v152, v56, s17, v151
	v_mul_f16_e32 v153, 0x3836, v104
	v_add_f16_e32 v152, v152, v0
	v_fma_f16 v154, v62, s16, v153
	v_add_f16_e32 v152, v154, v152
	v_mul_f16_e32 v154, 0x3964, v105
	v_fma_f16 v155, v65, s7, v154
	v_add_f16_e32 v152, v155, v152
	v_mul_f16_e32 v155, 0xbb29, v106
	;; [unrolled: 3-line block ×7, first 2 shown]
	v_fma_f16 v161, v64, s28, v160
	v_mul_f16_e32 v162, 0xb461, v63
	v_add_f16_sdwa v161, v161, v0 dst_sel:DWORD dst_unused:UNUSED_PAD src0_sel:DWORD src1_sel:WORD_1
	v_fma_f16 v163, v72, s27, v162
	v_add_f16_e32 v161, v163, v161
	v_mul_f16_e32 v163, 0x3b76, v66
	v_fma_f16 v164, v78, s25, v163
	v_add_f16_e32 v161, v164, v161
	v_mul_f16_e32 v164, 0xbacd, v74
	;; [unrolled: 3-line block ×3, first 2 shown]
	v_fma_f16 v166, v93, s18, v165
	v_add_f16_e32 v161, v166, v161
	s_movk_i32 s34, 0x3964
	v_mul_f16_e32 v166, 0x39e9, v85
	v_fma_f16 v167, v97, s34, v166
	v_add_f16_e32 v161, v167, v161
	v_mul_f16_e32 v167, 0xbbdd, v91
	v_fma_f16 v168, v99, s29, v167
	v_add_f16_e32 v161, v168, v161
	v_mul_f16_e32 v168, 0x3722, v94
	v_fma_f16 v169, v100, s23, v168
	v_add_f16_e32 v161, v169, v161
	v_mul_f16_e32 v169, 0xba62, v103
	v_fma_f16 v170, v56, s10, v169
	v_mul_f16_e32 v171, 0x3bb2, v104
	v_add_f16_e32 v170, v170, v0
	v_fma_f16 v172, v62, s17, v171
	v_add_f16_e32 v170, v172, v170
	v_mul_f16_e32 v172, 0xb5c8, v105
	v_fma_f16 v173, v65, s6, v172
	v_add_f16_e32 v170, v173, v170
	v_mul_f16_e32 v173, 0xb836, v106
	;; [unrolled: 3-line block ×7, first 2 shown]
	v_fma_f16 v179, v64, s26, v178
	v_mul_f16_e32 v180, 0x3722, v63
	v_add_f16_sdwa v179, v179, v0 dst_sel:DWORD dst_unused:UNUSED_PAD src0_sel:DWORD src1_sel:WORD_1
	v_fma_f16 v181, v72, s23, v180
	v_add_f16_e32 v179, v181, v179
	v_mul_f16_e32 v181, 0x2de8, v66
	v_fma_f16 v182, v78, s33, v181
	v_add_f16_e32 v179, v182, v179
	v_mul_f16_e32 v182, 0xb8d2, v74
	;; [unrolled: 3-line block ×7, first 2 shown]
	v_fma_f16 v188, v56, s16, v187
	v_mul_f16_e32 v189, 0x3b29, v104
	v_add_f16_e32 v188, v188, v0
	v_fma_f16 v190, v62, s9, v189
	v_add_f16_e32 v188, v190, v188
	v_mul_f16_e32 v190, 0xbbf7, v105
	v_fma_f16 v191, v65, s8, v190
	v_add_f16_e32 v188, v191, v188
	v_mul_f16_e32 v191, 0x3a62, v106
	;; [unrolled: 3-line block ×7, first 2 shown]
	v_fma_f16 v197, v64, s29, v196
	v_mul_f16_e32 v198, 0x3b76, v63
	v_add_f16_sdwa v197, v197, v0 dst_sel:DWORD dst_unused:UNUSED_PAD src0_sel:DWORD src1_sel:WORD_1
	v_fma_f16 v199, v72, s19, v198
	v_add_f16_e32 v197, v199, v197
	v_mul_f16_e32 v199, 0xbacd, v66
	v_fma_f16 v200, v78, s26, v199
	v_add_f16_e32 v197, v200, v197
	v_mul_f16_e32 v200, 0x39e9, v74
	;; [unrolled: 3-line block ×6, first 2 shown]
	v_fma_f16 v205, v100, s18, v204
	v_mul_f16_e32 v103, 0xb1e1, v103
	v_add_f16_e32 v197, v205, v197
	v_fma_f16 v205, v56, s11, v103
	v_mul_f16_e32 v104, 0x35c8, v104
	v_fma_f16 v103, v56, s11, -v103
	v_fma_f16 v206, v62, s6, v104
	v_mul_f16_e32 v105, 0xb836, v105
	v_add_f16_e32 v103, v103, v0
	v_fma_f16 v104, v62, s6, -v104
	v_mul_f16_e32 v106, 0x3964, v106
	v_add_f16_e32 v103, v104, v103
	v_fma_f16 v104, v65, s16, -v105
	;; [unrolled: 3-line block ×6, first 2 shown]
	v_add_f16_e32 v103, v104, v103
	v_fma_f16 v104, v92, s8, -v110
	v_add_f16_e32 v205, v205, v0
	v_add_f16_e32 v103, v104, v103
	v_fma_f16 v104, v64, s20, v178
	v_add_f16_e32 v205, v206, v205
	v_fma_f16 v206, v65, s16, v105
	v_add_f16_sdwa v104, v104, v0 dst_sel:DWORD dst_unused:UNUSED_PAD src0_sel:DWORD src1_sel:WORD_1
	v_fma_f16 v105, v72, s31, v180
	v_add_f16_e32 v104, v105, v104
	v_fma_f16 v105, v78, s18, v181
	v_add_f16_e32 v104, v105, v104
	v_fma_f16 v105, v86, s28, v182
	v_add_f16_e32 v104, v105, v104
	v_fma_f16 v105, v93, s19, v183
	v_add_f16_e32 v104, v105, v104
	v_fma_f16 v105, v97, s24, v184
	v_add_f16_e32 v104, v105, v104
	v_fma_f16 v105, v99, s34, v185
	v_add_f16_e32 v104, v105, v104
	v_fma_f16 v105, v100, s27, v186
	v_add_f16_e32 v104, v105, v104
	v_fma_f16 v105, v56, s16, -v187
	v_add_f16_e32 v205, v206, v205
	v_fma_f16 v206, v71, s7, v106
	v_add_f16_e32 v105, v105, v0
	v_fma_f16 v106, v62, s9, -v189
	v_add_f16_e32 v105, v106, v105
	v_fma_f16 v106, v65, s8, -v190
	v_add_f16_e32 v105, v106, v105
	v_fma_f16 v106, v71, s10, -v191
	v_add_f16_e32 v105, v106, v105
	v_fma_f16 v106, v79, s6, -v192
	v_add_f16_e32 v105, v106, v105
	v_fma_f16 v106, v84, s11, -v193
	v_add_f16_e32 v105, v106, v105
	v_fma_f16 v106, v87, s7, -v194
	v_add_f16_e32 v105, v106, v105
	v_fma_f16 v106, v92, s17, -v195
	v_add_f16_e32 v105, v106, v105
	v_fma_f16 v106, v64, s22, v160
	v_add_f16_e32 v205, v206, v205
	v_fma_f16 v206, v79, s10, v107
	v_add_f16_sdwa v106, v106, v0 dst_sel:DWORD dst_unused:UNUSED_PAD src0_sel:DWORD src1_sel:WORD_1
	v_fma_f16 v107, v72, s21, v162
	v_add_f16_e32 v106, v107, v106
	v_fma_f16 v107, v78, s19, v163
	v_add_f16_e32 v106, v107, v106
	v_fma_f16 v107, v86, s20, v164
	v_add_f16_e32 v106, v107, v106
	v_fma_f16 v107, v93, s33, v165
	v_add_f16_e32 v106, v107, v106
	v_fma_f16 v107, v97, s30, v166
	v_add_f16_e32 v106, v107, v106
	v_fma_f16 v107, v99, s24, v167
	v_add_f16_e32 v106, v107, v106
	v_fma_f16 v107, v100, s31, v168
	v_add_f16_e32 v106, v107, v106
	v_fma_f16 v107, v56, s10, -v169
	v_add_f16_e32 v205, v206, v205
	v_fma_f16 v206, v84, s9, v108
	v_add_f16_e32 v107, v107, v0
	v_fma_f16 v108, v62, s17, -v171
	v_add_f16_e32 v107, v108, v107
	v_fma_f16 v108, v65, s6, -v172
	v_add_f16_e32 v107, v108, v107
	v_fma_f16 v108, v71, s16, -v173
	v_add_f16_e32 v107, v108, v107
	v_fma_f16 v108, v79, s8, -v174
	v_add_f16_e32 v107, v108, v107
	v_fma_f16 v108, v84, s7, -v175
	v_add_f16_e32 v107, v108, v107
	v_fma_f16 v108, v87, s11, -v176
	v_add_f16_e32 v107, v108, v107
	v_fma_f16 v108, v92, s9, -v177
	;; [unrolled: 36-line block ×3, first 2 shown]
	v_fma_f16 v196, v64, s24, v196
	v_add_f16_e32 v109, v110, v109
	v_fma_f16 v110, v64, s18, v127
	v_fma_f16 v64, v64, s23, v111
	;; [unrolled: 1-line block ×3, first 2 shown]
	v_add_f16_sdwa v110, v110, v0 dst_sel:DWORD dst_unused:UNUSED_PAD src0_sel:DWORD src1_sel:WORD_1
	v_fma_f16 v127, v72, s24, v128
	v_fma_f16 v72, v72, s22, v112
	v_add_f16_sdwa v64, v64, v0 dst_sel:DWORD dst_unused:UNUSED_PAD src0_sel:DWORD src1_sel:WORD_1
	v_add_f16_e32 v110, v127, v110
	v_fma_f16 v127, v78, s21, v129
	v_add_f16_e32 v64, v72, v64
	v_fma_f16 v72, v78, s29, v113
	;; [unrolled: 2-line block ×6, first 2 shown]
	v_add_f16_sdwa v196, v196, v0 dst_sel:DWORD dst_unused:UNUSED_PAD src0_sel:DWORD src1_sel:WORD_1
	v_add_f16_e32 v110, v127, v110
	v_fma_f16 v127, v97, s20, v132
	v_add_f16_e32 v64, v72, v64
	v_fma_f16 v72, v97, s19, v116
	;; [unrolled: 2-line block ×7, first 2 shown]
	v_mul_f16_e32 v72, 0x3b76, v56
	v_mul_f16_e32 v86, 0x3b76, v57
	v_add_f16_e32 v64, v78, v64
	v_mul_f16_e32 v78, 0x39e9, v56
	v_mul_f16_e32 v57, 0x39e9, v57
	v_add_f16_e32 v110, v127, v110
	v_fma_f16 v127, v56, s8, -v135
	v_fma_f16 v56, v56, s9, -v119
	v_add_f16_e32 v51, v51, v57
	v_sub_f16_e32 v47, v78, v47
	v_add_f16_e32 v44, v44, v86
	v_sub_f16_e32 v42, v72, v42
	v_add_f16_e32 v127, v127, v0
	v_add_f16_e32 v56, v56, v0
	v_add_f16_sdwa v51, v51, v0 dst_sel:DWORD dst_unused:UNUSED_PAD src0_sel:DWORD src1_sel:WORD_1
	v_add_f16_e32 v47, v47, v0
	v_add_f16_sdwa v44, v44, v0 dst_sel:DWORD dst_unused:UNUSED_PAD src0_sel:DWORD src1_sel:WORD_1
	v_add_f16_e32 v42, v42, v0
	v_add_f16_e32 v1, v1, v0
	v_add_f16_sdwa v0, v20, v0 dst_sel:DWORD dst_unused:UNUSED_PAD src0_sel:DWORD src1_sel:WORD_1
	v_add_f16_e32 v1, v2, v1
	v_add_f16_e32 v0, v19, v0
	v_add_f16_e32 v196, v198, v196
	v_fma_f16 v198, v93, s22, v201
	v_add_f16_e32 v1, v3, v1
	v_add_f16_e32 v0, v18, v0
	v_add_f16_e32 v196, v198, v196
	v_fma_f16 v198, v97, s31, v202
	;; [unrolled: 4-line block ×3, first 2 shown]
	v_fma_f16 v128, v62, s11, -v136
	v_mul_f16_e32 v97, 0x39e9, v62
	v_mul_f16_e32 v99, 0x2de8, v62
	v_fma_f16 v62, v62, s10, -v120
	v_add_f16_e32 v1, v5, v1
	v_add_f16_e32 v0, v16, v0
	;; [unrolled: 1-line block ×3, first 2 shown]
	v_fma_f16 v111, v65, s11, -v121
	v_add_f16_e32 v1, v6, v1
	v_add_f16_e32 v0, v25, v0
	v_fma_f16 v93, v100, s20, v118
	v_add_f16_e32 v56, v111, v56
	v_fma_f16 v112, v71, s17, -v122
	v_add_f16_e32 v1, v7, v1
	v_add_f16_e32 v0, v24, v0
	;; [unrolled: 1-line block ×3, first 2 shown]
	v_mul_f16_e32 v93, 0x39e9, v63
	v_add_f16_e32 v56, v112, v56
	v_fma_f16 v113, v79, s7, -v123
	v_add_f16_e32 v1, v8, v1
	v_add_f16_e32 v0, v23, v0
	;; [unrolled: 1-line block ×3, first 2 shown]
	v_fma_f16 v198, v100, s33, v204
	v_mul_f16_e32 v63, 0x2de8, v63
	v_mul_f16_e32 v100, 0x3722, v65
	;; [unrolled: 1-line block ×3, first 2 shown]
	v_add_f16_e32 v56, v113, v56
	v_fma_f16 v114, v84, s6, -v124
	v_add_f16_e32 v45, v45, v93
	v_sub_f16_e32 v43, v97, v43
	v_add_f16_e32 v1, v9, v1
	v_add_f16_e32 v0, v22, v0
	v_add_f16_e32 v127, v128, v127
	v_fma_f16 v128, v65, s17, -v137
	v_mul_f16_e32 v65, 0xb8d2, v65
	v_mul_f16_e32 v66, 0xb8d2, v66
	v_mul_f16_e32 v111, 0x2de8, v71
	v_mul_f16_e32 v112, 0x2de8, v74
	v_add_f16_e32 v56, v114, v56
	v_fma_f16 v115, v87, s8, -v125
	v_add_f16_e32 v55, v55, v63
	v_sub_f16_e32 v50, v99, v50
	v_add_f16_e32 v44, v45, v44
	v_add_f16_e32 v45, v48, v62
	;; [unrolled: 1-line block ×3, first 2 shown]
	v_sub_f16_e32 v43, v100, v46
	v_add_f16_e32 v1, v10, v1
	v_add_f16_e32 v0, v21, v0
	;; [unrolled: 1-line block ×3, first 2 shown]
	v_fma_f16 v128, v71, s6, -v138
	v_mul_f16_e32 v71, 0xbbdd, v71
	v_mul_f16_e32 v74, 0xbbdd, v74
	v_mul_f16_e32 v113, 0xb461, v79
	v_mul_f16_e32 v114, 0xb461, v80
	v_add_f16_e32 v56, v115, v56
	v_fma_f16 v116, v92, s16, -v126
	v_add_f16_e32 v51, v55, v51
	v_add_f16_e32 v60, v60, v66
	;; [unrolled: 1-line block ×3, first 2 shown]
	v_sub_f16_e32 v50, v65, v53
	v_add_f16_e32 v44, v45, v44
	v_add_f16_e32 v45, v52, v112
	v_add_f16_e32 v42, v43, v42
	v_sub_f16_e32 v43, v111, v49
	v_add_f16_e32 v1, v11, v1
	v_add_f16_e32 v0, v28, v0
	;; [unrolled: 1-line block ×3, first 2 shown]
	v_fma_f16 v128, v79, s9, -v139
	v_mul_f16_e32 v79, 0xbacd, v79
	v_mul_f16_e32 v80, 0xbacd, v80
	v_mul_f16_e32 v115, 0xb8d2, v84
	v_add_f16_e32 v56, v116, v56
	v_mul_f16_e32 v116, 0xb8d2, v85
	v_add_f16_e32 v51, v60, v51
	v_add_f16_e32 v60, v67, v74
	;; [unrolled: 1-line block ×3, first 2 shown]
	v_sub_f16_e32 v50, v71, v58
	v_add_f16_e32 v44, v45, v44
	v_add_f16_e32 v45, v61, v114
	;; [unrolled: 1-line block ×3, first 2 shown]
	v_sub_f16_e32 v43, v113, v54
	v_add_f16_e32 v1, v12, v1
	v_add_f16_e32 v0, v40, v0
	;; [unrolled: 1-line block ×3, first 2 shown]
	v_fma_f16 v128, v84, s16, -v140
	v_mul_f16_e32 v84, 0xb461, v84
	v_mul_f16_e32 v85, 0xb461, v85
	;; [unrolled: 1-line block ×4, first 2 shown]
	v_add_f16_e32 v51, v60, v51
	v_add_f16_e32 v60, v77, v80
	;; [unrolled: 1-line block ×3, first 2 shown]
	v_sub_f16_e32 v50, v79, v70
	v_add_f16_e32 v44, v45, v44
	v_add_f16_e32 v45, v69, v116
	;; [unrolled: 1-line block ×3, first 2 shown]
	v_sub_f16_e32 v43, v115, v59
	v_add_f16_e32 v1, v13, v1
	v_add_f16_e32 v0, v37, v0
	;; [unrolled: 1-line block ×3, first 2 shown]
	v_fma_f16 v128, v87, s10, -v141
	v_mul_f16_e32 v87, 0x3722, v87
	v_mul_f16_e32 v91, 0x3722, v91
	;; [unrolled: 1-line block ×4, first 2 shown]
	v_add_f16_e32 v51, v60, v51
	v_add_f16_e32 v60, v82, v85
	;; [unrolled: 1-line block ×3, first 2 shown]
	v_sub_f16_e32 v50, v84, v75
	v_add_f16_e32 v44, v45, v44
	v_add_f16_e32 v45, v76, v63
	;; [unrolled: 1-line block ×3, first 2 shown]
	v_sub_f16_e32 v43, v57, v68
	v_add_f16_e32 v1, v14, v1
	v_add_f16_e32 v0, v29, v0
	;; [unrolled: 1-line block ×3, first 2 shown]
	v_fma_f16 v128, v92, s7, -v142
	v_mul_f16_e32 v92, 0x3b76, v92
	v_mul_f16_e32 v94, 0x3b76, v94
	v_add_f16_e32 v51, v60, v51
	v_add_f16_e32 v60, v90, v91
	;; [unrolled: 1-line block ×3, first 2 shown]
	v_sub_f16_e32 v50, v87, v83
	v_add_f16_e32 v44, v45, v44
	v_add_f16_e32 v45, v81, v66
	;; [unrolled: 1-line block ×3, first 2 shown]
	v_sub_f16_e32 v43, v55, v73
	v_add_f16_e32 v1, v15, v1
	v_add_f16_e32 v0, v27, v0
	;; [unrolled: 1-line block ×5, first 2 shown]
	v_sub_f16_e32 v50, v92, v89
	v_add_f16_e32 v44, v45, v44
	v_add_f16_e32 v42, v43, v42
	;; [unrolled: 1-line block ×4, first 2 shown]
	v_mul_lo_u16_e32 v2, 17, v210
	v_add_f16_e32 v51, v60, v51
	v_add_f16_e32 v47, v50, v47
	v_add_lshl_u32 v2, v30, v2, 2
	v_pack_b32_f16 v3, v42, v44
	v_pack_b32_f16 v0, v1, v0
	v_add_f16_e32 v127, v128, v127
	ds_write2_b32 v2, v0, v3 offset1:1
	v_pack_b32_f16 v0, v47, v51
	v_pack_b32_f16 v1, v56, v64
	ds_write2_b32 v2, v0, v1 offset0:2 offset1:3
	v_pack_b32_f16 v0, v109, v108
	v_pack_b32_f16 v1, v127, v110
	v_add_f16_e32 v205, v206, v205
	v_add_f16_e32 v196, v198, v196
	ds_write2_b32 v2, v1, v0 offset0:4 offset1:5
	v_pack_b32_f16 v0, v105, v104
	v_pack_b32_f16 v1, v107, v106
	ds_write2_b32 v2, v1, v0 offset0:6 offset1:7
	v_pack_b32_f16 v0, v205, v197
	v_pack_b32_f16 v1, v103, v196
	;; [unrolled: 3-line block ×4, first 2 shown]
	s_mov_b32 s6, 0x5040100
	ds_write2_b32 v2, v1, v0 offset0:12 offset1:13
	v_pack_b32_f16 v0, v96, v88
	v_perm_b32 v1, v35, v31, s6
	ds_write2_b32 v2, v0, v1 offset0:14 offset1:15
	v_perm_b32 v0, v39, v38, s6
	ds_write_b32 v2, v0 offset:64
.LBB0_7:
	s_or_b64 exec, exec, s[0:1]
	v_add_lshl_u32 v37, v30, v210, 2
	v_add_u32_e32 v0, 0x200, v37
	s_waitcnt lgkmcnt(0)
	s_barrier
	ds_read2_b32 v[16:17], v0 offset0:42 offset1:144
	v_add_u32_e32 v0, 0x800, v37
	ds_read2_b32 v[22:23], v0 offset0:32 offset1:117
	v_add_u32_e32 v0, 0xa00, v37
	;; [unrolled: 2-line block ×5, first 2 shown]
	ds_read2_b32 v[18:19], v37 offset1:85
	ds_read2_b32 v[26:27], v0 offset0:133 offset1:218
	ds_read_b32 v40, v37 offset:5032
	v_cmp_gt_u16_e64 s[0:1], 17, v210
                                        ; implicit-def: $vgpr41
                                        ; implicit-def: $vgpr46
                                        ; implicit-def: $vgpr42
                                        ; implicit-def: $vgpr44
                                        ; implicit-def: $vgpr43
                                        ; implicit-def: $vgpr45
	s_and_saveexec_b64 s[6:7], s[0:1]
	s_cbranch_execz .LBB0_9
; %bb.8:
	ds_read_b32 v31, v37 offset:1020
	ds_read_b32 v38, v37 offset:2108
	;; [unrolled: 1-line block ×5, first 2 shown]
	s_waitcnt lgkmcnt(4)
	v_lshrrev_b32_e32 v35, 16, v31
	s_waitcnt lgkmcnt(3)
	v_lshrrev_b32_e32 v39, 16, v38
	;; [unrolled: 2-line block ×5, first 2 shown]
.LBB0_9:
	s_or_b64 exec, exec, s[6:7]
	s_movk_i32 s6, 0xf1
	v_mul_lo_u16_sdwa v0, v210, s6 dst_sel:DWORD dst_unused:UNUSED_PAD src0_sel:BYTE_0 src1_sel:DWORD
	v_lshrrev_b16_e32 v47, 12, v0
	v_mul_lo_u16_e32 v0, 17, v47
	v_sub_u16_e32 v48, v210, v0
	v_mov_b32_e32 v0, 4
	v_lshlrev_b32_sdwa v1, v0, v48 dst_sel:DWORD dst_unused:UNUSED_PAD src0_sel:DWORD src1_sel:BYTE_0
	global_load_dwordx4 v[4:7], v1, s[2:3]
	v_add_u16_e32 v1, 0x55, v210
	v_mul_lo_u16_sdwa v2, v1, s6 dst_sel:DWORD dst_unused:UNUSED_PAD src0_sel:BYTE_0 src1_sel:DWORD
	v_lshrrev_b16_e32 v49, 12, v2
	v_mul_lo_u16_e32 v2, 17, v49
	v_sub_u16_e32 v50, v1, v2
	v_lshlrev_b32_sdwa v1, v0, v50 dst_sel:DWORD dst_unused:UNUSED_PAD src0_sel:DWORD src1_sel:BYTE_0
	global_load_dwordx4 v[8:11], v1, s[2:3]
	v_add_u16_e32 v1, 0xaa, v210
	v_mul_lo_u16_sdwa v2, v1, s6 dst_sel:DWORD dst_unused:UNUSED_PAD src0_sel:BYTE_0 src1_sel:DWORD
	v_lshrrev_b16_e32 v51, 12, v2
	v_mul_lo_u16_e32 v2, 17, v51
	v_sub_u16_e32 v52, v1, v2
	v_lshlrev_b32_sdwa v0, v0, v52 dst_sel:DWORD dst_unused:UNUSED_PAD src0_sel:DWORD src1_sel:BYTE_0
	global_load_dwordx4 v[12:15], v0, s[2:3]
	v_add_u32_e32 v0, 0xff, v210
	s_mov_b32 s6, 0xf0f1
	v_mul_u32_u24_sdwa v1, v0, s6 dst_sel:DWORD dst_unused:UNUSED_PAD src0_sel:WORD_0 src1_sel:DWORD
	v_lshrrev_b32_e32 v1, 20, v1
	v_mul_lo_u16_e32 v1, 17, v1
	v_sub_u16_e32 v132, v0, v1
	v_lshlrev_b16_e32 v0, 2, v132
	v_lshlrev_b32_e32 v0, 2, v0
	global_load_dwordx4 v[0:3], v0, s[2:3]
	s_waitcnt lgkmcnt(7)
	v_lshrrev_b32_e32 v55, 16, v17
	s_waitcnt lgkmcnt(3)
	v_lshrrev_b32_e32 v60, 16, v28
	s_waitcnt lgkmcnt(1)
	v_lshrrev_b32_e32 v67, 16, v27
	v_lshrrev_b32_e32 v56, 16, v22
	v_lshrrev_b32_e32 v57, 16, v21
	;; [unrolled: 1-line block ×3, first 2 shown]
	s_waitcnt lgkmcnt(0)
	v_lshrrev_b32_e32 v68, 16, v40
	v_lshrrev_b32_e32 v58, 16, v24
	;; [unrolled: 1-line block ×5, first 2 shown]
	s_load_dwordx4 s[8:11], s[4:5], 0x0
	s_movk_i32 s5, 0x3b9c
	s_mov_b32 s7, 0xbb9c
	s_movk_i32 s4, 0x38b4
	s_mov_b32 s16, 0xb8b4
	s_movk_i32 s6, 0x34f2
	v_lshrrev_b32_e32 v53, 16, v18
	v_lshrrev_b32_e32 v59, 16, v19
	;; [unrolled: 1-line block ×4, first 2 shown]
	s_waitcnt lgkmcnt(0)
	s_barrier
	s_waitcnt vmcnt(3)
	v_mul_f16_sdwa v69, v55, v4 dst_sel:DWORD dst_unused:UNUSED_PAD src0_sel:DWORD src1_sel:WORD_1
	v_mul_f16_sdwa v70, v17, v4 dst_sel:DWORD dst_unused:UNUSED_PAD src0_sel:DWORD src1_sel:WORD_1
	v_fma_f16 v69, v17, v4, -v69
	v_mul_f16_sdwa v71, v56, v5 dst_sel:DWORD dst_unused:UNUSED_PAD src0_sel:DWORD src1_sel:WORD_1
	v_mul_f16_sdwa v73, v57, v6 dst_sel:DWORD dst_unused:UNUSED_PAD src0_sel:DWORD src1_sel:WORD_1
	v_mul_f16_sdwa v76, v24, v7 dst_sel:DWORD dst_unused:UNUSED_PAD src0_sel:DWORD src1_sel:WORD_1
	v_mul_f16_sdwa v72, v22, v5 dst_sel:DWORD dst_unused:UNUSED_PAD src0_sel:DWORD src1_sel:WORD_1
	s_waitcnt vmcnt(2)
	v_mul_f16_sdwa v77, v60, v8 dst_sel:DWORD dst_unused:UNUSED_PAD src0_sel:DWORD src1_sel:WORD_1
	v_mul_f16_sdwa v78, v28, v8 dst_sel:DWORD dst_unused:UNUSED_PAD src0_sel:DWORD src1_sel:WORD_1
	v_fma_f16 v28, v28, v8, -v77
	v_mul_f16_sdwa v75, v58, v7 dst_sel:DWORD dst_unused:UNUSED_PAD src0_sel:DWORD src1_sel:WORD_1
	v_fma_f16 v55, v55, v4, v70
	v_fma_f16 v70, v22, v5, -v71
	v_fma_f16 v71, v21, v6, -v73
	s_waitcnt vmcnt(1)
	v_mul_f16_sdwa v89, v67, v14 dst_sel:DWORD dst_unused:UNUSED_PAD src0_sel:DWORD src1_sel:WORD_1
	v_mul_f16_sdwa v17, v27, v14 dst_sel:DWORD dst_unused:UNUSED_PAD src0_sel:DWORD src1_sel:WORD_1
	;; [unrolled: 1-line block ×3, first 2 shown]
	v_fma_f16 v77, v27, v14, -v89
	v_fma_f16 v27, v67, v14, v17
	v_mul_f16_sdwa v17, v68, v15 dst_sel:DWORD dst_unused:UNUSED_PAD src0_sel:DWORD src1_sel:WORD_1
	v_mul_f16_sdwa v88, v20, v13 dst_sel:DWORD dst_unused:UNUSED_PAD src0_sel:DWORD src1_sel:WORD_1
	v_fma_f16 v58, v58, v7, v76
	v_fma_f16 v76, v20, v13, -v87
	v_fma_f16 v67, v40, v15, -v17
	v_mul_f16_sdwa v17, v40, v15 dst_sel:DWORD dst_unused:UNUSED_PAD src0_sel:DWORD src1_sel:WORD_1
	s_waitcnt vmcnt(0)
	v_mul_f16_sdwa v20, v38, v0 dst_sel:DWORD dst_unused:UNUSED_PAD src0_sel:DWORD src1_sel:WORD_1
	v_mul_f16_sdwa v74, v21, v6 dst_sel:DWORD dst_unused:UNUSED_PAD src0_sel:DWORD src1_sel:WORD_1
	;; [unrolled: 1-line block ×5, first 2 shown]
	v_fma_f16 v56, v56, v5, v72
	v_fma_f16 v72, v24, v7, -v75
	v_fma_f16 v40, v68, v15, v17
	v_mul_f16_sdwa v17, v39, v0 dst_sel:DWORD dst_unused:UNUSED_PAD src0_sel:DWORD src1_sel:WORD_1
	v_fma_f16 v21, v39, v0, v20
	v_mul_f16_sdwa v20, v46, v1 dst_sel:DWORD dst_unused:UNUSED_PAD src0_sel:DWORD src1_sel:WORD_1
	v_mul_f16_sdwa v22, v41, v1 dst_sel:DWORD dst_unused:UNUSED_PAD src0_sel:DWORD src1_sel:WORD_1
	;; [unrolled: 1-line block ×3, first 2 shown]
	v_add_f16_e32 v39, v70, v71
	v_mul_f16_sdwa v80, v23, v9 dst_sel:DWORD dst_unused:UNUSED_PAD src0_sel:DWORD src1_sel:WORD_1
	v_mul_f16_sdwa v82, v26, v10 dst_sel:DWORD dst_unused:UNUSED_PAD src0_sel:DWORD src1_sel:WORD_1
	;; [unrolled: 1-line block ×3, first 2 shown]
	v_fma_f16 v57, v57, v6, v74
	v_fma_f16 v73, v23, v9, -v79
	v_fma_f16 v74, v26, v10, -v81
	;; [unrolled: 1-line block ×4, first 2 shown]
	v_fma_f16 v23, v46, v1, v22
	v_mul_f16_sdwa v22, v44, v2 dst_sel:DWORD dst_unused:UNUSED_PAD src0_sel:DWORD src1_sel:WORD_1
	v_fma_f16 v25, v44, v2, v24
	v_mul_f16_sdwa v24, v45, v3 dst_sel:DWORD dst_unused:UNUSED_PAD src0_sel:DWORD src1_sel:WORD_1
	v_mul_f16_sdwa v26, v43, v3 dst_sel:DWORD dst_unused:UNUSED_PAD src0_sel:DWORD src1_sel:WORD_1
	v_fma_f16 v39, v39, -0.5, v18
	v_sub_f16_e32 v41, v55, v58
	v_fma_f16 v22, v42, v2, -v22
	v_fma_f16 v24, v43, v3, -v24
	v_fma_f16 v26, v45, v3, v26
	v_fma_f16 v42, v41, s5, v39
	v_sub_f16_e32 v43, v56, v57
	v_sub_f16_e32 v44, v69, v70
	;; [unrolled: 1-line block ×3, first 2 shown]
	v_fma_f16 v39, v41, s7, v39
	v_fma_f16 v42, v43, s4, v42
	v_add_f16_e32 v44, v44, v45
	v_fma_f16 v39, v43, s16, v39
	v_fma_f16 v42, v44, s6, v42
	;; [unrolled: 1-line block ×3, first 2 shown]
	v_add_f16_e32 v39, v69, v72
	v_fma_f16 v17, v38, v0, -v17
	v_add_f16_e32 v38, v18, v69
	v_fma_f16 v18, v39, -0.5, v18
	v_fma_f16 v39, v43, s7, v18
	v_sub_f16_e32 v45, v70, v69
	v_sub_f16_e32 v46, v71, v72
	v_fma_f16 v39, v41, s4, v39
	v_add_f16_e32 v45, v45, v46
	v_fma_f16 v46, v45, s6, v39
	v_add_f16_e32 v39, v53, v55
	v_add_f16_e32 v39, v39, v56
	v_fma_f16 v18, v43, s5, v18
	v_add_f16_e32 v39, v39, v57
	v_fma_f16 v18, v41, s16, v18
	v_add_f16_e32 v41, v39, v58
	v_add_f16_e32 v39, v56, v57
	v_fma_f16 v39, v39, -0.5, v53
	v_sub_f16_e32 v43, v69, v72
	v_add_f16_e32 v38, v38, v70
	v_fma_f16 v18, v45, s6, v18
	v_fma_f16 v45, v43, s7, v39
	v_sub_f16_e32 v68, v70, v71
	v_sub_f16_e32 v69, v55, v56
	v_sub_f16_e32 v70, v58, v57
	v_fma_f16 v39, v43, s5, v39
	v_fma_f16 v45, v68, s16, v45
	v_add_f16_e32 v69, v69, v70
	v_fma_f16 v39, v68, s4, v39
	v_fma_f16 v45, v69, s6, v45
	;; [unrolled: 1-line block ×3, first 2 shown]
	v_add_f16_e32 v39, v55, v58
	v_fma_f16 v39, v39, -0.5, v53
	v_fma_f16 v53, v68, s5, v39
	v_sub_f16_e32 v55, v56, v55
	v_sub_f16_e32 v56, v57, v58
	v_fma_f16 v39, v68, s7, v39
	v_add_f16_e32 v55, v55, v56
	v_fma_f16 v39, v43, s4, v39
	v_fma_f16 v53, v43, s16, v53
	;; [unrolled: 1-line block ×3, first 2 shown]
	v_add_f16_e32 v39, v19, v28
	v_add_f16_e32 v39, v39, v73
	;; [unrolled: 1-line block ×3, first 2 shown]
	v_fma_f16 v60, v60, v8, v78
	v_fma_f16 v63, v63, v11, v84
	v_add_f16_e32 v68, v39, v75
	v_add_f16_e32 v39, v73, v74
	v_fma_f16 v61, v61, v9, v80
	v_fma_f16 v62, v62, v10, v82
	;; [unrolled: 1-line block ×3, first 2 shown]
	v_fma_f16 v39, v39, -0.5, v19
	v_sub_f16_e32 v55, v60, v63
	v_fma_f16 v56, v55, s5, v39
	v_sub_f16_e32 v57, v61, v62
	v_sub_f16_e32 v58, v28, v73
	;; [unrolled: 1-line block ×3, first 2 shown]
	v_fma_f16 v39, v55, s7, v39
	v_add_f16_e32 v58, v58, v70
	v_fma_f16 v39, v57, s16, v39
	v_add_f16_e32 v38, v38, v71
	;; [unrolled: 2-line block ×3, first 2 shown]
	v_fma_f16 v56, v57, s4, v56
	v_fma_f16 v19, v39, -0.5, v19
	v_fma_f16 v70, v58, s6, v56
	v_fma_f16 v39, v57, s7, v19
	v_sub_f16_e32 v56, v73, v28
	v_sub_f16_e32 v58, v74, v75
	v_fma_f16 v39, v55, s4, v39
	v_add_f16_e32 v56, v56, v58
	v_add_f16_e32 v38, v38, v72
	v_fma_f16 v72, v56, s6, v39
	v_add_f16_e32 v39, v59, v60
	v_add_f16_e32 v39, v39, v61
	;; [unrolled: 1-line block ×3, first 2 shown]
	v_fma_f16 v19, v57, s5, v19
	v_add_f16_e32 v78, v39, v63
	v_add_f16_e32 v39, v61, v62
	v_fma_f16 v19, v55, s16, v19
	v_fma_f16 v39, v39, -0.5, v59
	v_sub_f16_e32 v28, v28, v75
	v_fma_f16 v19, v56, s6, v19
	v_fma_f16 v55, v28, s7, v39
	v_sub_f16_e32 v56, v73, v74
	v_sub_f16_e32 v57, v60, v61
	;; [unrolled: 1-line block ×3, first 2 shown]
	v_fma_f16 v39, v28, s5, v39
	v_add_f16_e32 v57, v57, v58
	v_fma_f16 v39, v56, s4, v39
	v_fma_f16 v74, v57, s6, v39
	v_add_f16_e32 v39, v60, v63
	v_mul_f16_sdwa v85, v65, v12 dst_sel:DWORD dst_unused:UNUSED_PAD src0_sel:DWORD src1_sel:WORD_1
	v_fma_f16 v55, v56, s16, v55
	v_fma_f16 v39, v39, -0.5, v59
	v_mul_f16_sdwa v86, v29, v12 dst_sel:DWORD dst_unused:UNUSED_PAD src0_sel:DWORD src1_sel:WORD_1
	v_fma_f16 v29, v29, v12, -v85
	v_fma_f16 v73, v57, s6, v55
	v_fma_f16 v55, v56, s5, v39
	;; [unrolled: 1-line block ×5, first 2 shown]
	v_add_f16_e32 v39, v16, v29
	v_add_f16_e32 v39, v39, v76
	v_sub_f16_e32 v57, v61, v60
	v_sub_f16_e32 v58, v62, v63
	v_add_f16_e32 v39, v39, v77
	v_fma_f16 v65, v65, v12, v86
	v_add_f16_e32 v57, v57, v58
	v_add_f16_e32 v75, v39, v67
	;; [unrolled: 1-line block ×3, first 2 shown]
	v_fma_f16 v66, v66, v13, v88
	v_fma_f16 v63, v57, s6, v55
	v_fma_f16 v39, v39, -0.5, v16
	v_sub_f16_e32 v55, v65, v40
	v_fma_f16 v28, v57, s6, v28
	v_fma_f16 v56, v55, s5, v39
	v_sub_f16_e32 v57, v66, v27
	v_sub_f16_e32 v58, v29, v76
	;; [unrolled: 1-line block ×3, first 2 shown]
	v_fma_f16 v39, v55, s7, v39
	v_add_f16_e32 v58, v58, v59
	v_fma_f16 v39, v57, s16, v39
	v_fma_f16 v80, v58, s6, v39
	v_add_f16_e32 v39, v29, v67
	v_fma_f16 v56, v57, s4, v56
	v_fma_f16 v16, v39, -0.5, v16
	v_fma_f16 v79, v58, s6, v56
	v_fma_f16 v39, v57, s7, v16
	v_sub_f16_e32 v56, v76, v29
	v_sub_f16_e32 v58, v77, v67
	v_fma_f16 v39, v55, s4, v39
	v_add_f16_e32 v56, v56, v58
	v_fma_f16 v81, v56, s6, v39
	v_add_f16_e32 v39, v64, v65
	v_add_f16_e32 v39, v39, v66
	;; [unrolled: 1-line block ×3, first 2 shown]
	v_fma_f16 v16, v57, s5, v16
	v_add_f16_e32 v82, v39, v40
	v_add_f16_e32 v39, v66, v27
	v_fma_f16 v16, v55, s16, v16
	v_fma_f16 v39, v39, -0.5, v64
	v_sub_f16_e32 v29, v29, v67
	v_fma_f16 v16, v56, s6, v16
	v_fma_f16 v55, v29, s7, v39
	v_sub_f16_e32 v56, v76, v77
	v_sub_f16_e32 v57, v65, v66
	;; [unrolled: 1-line block ×3, first 2 shown]
	v_fma_f16 v39, v29, s5, v39
	v_add_f16_e32 v57, v57, v58
	v_fma_f16 v39, v56, s4, v39
	v_fma_f16 v76, v57, s6, v39
	v_add_f16_e32 v39, v65, v40
	v_fma_f16 v55, v56, s16, v55
	v_fma_f16 v39, v39, -0.5, v64
	v_fma_f16 v67, v57, s6, v55
	v_fma_f16 v55, v56, s5, v39
	v_sub_f16_e32 v57, v66, v65
	v_sub_f16_e32 v27, v27, v40
	v_fma_f16 v39, v56, s7, v39
	v_fma_f16 v55, v29, s16, v55
	v_add_f16_e32 v27, v57, v27
	v_fma_f16 v29, v29, s4, v39
	v_fma_f16 v40, v27, s6, v55
	;; [unrolled: 1-line block ×3, first 2 shown]
	v_add_f16_e32 v29, v20, v22
	v_fma_f16 v29, v29, -0.5, v31
	v_sub_f16_e32 v57, v21, v26
	v_fma_f16 v39, v57, s5, v29
	v_sub_f16_e32 v58, v23, v25
	v_sub_f16_e32 v55, v17, v20
	;; [unrolled: 1-line block ×3, first 2 shown]
	v_fma_f16 v29, v57, s7, v29
	v_fma_f16 v39, v58, s4, v39
	v_add_f16_e32 v55, v55, v56
	v_fma_f16 v29, v58, s16, v29
	v_fma_f16 v39, v55, s6, v39
	;; [unrolled: 1-line block ×3, first 2 shown]
	v_add_f16_e32 v29, v17, v24
	v_fma_f16 v29, v29, -0.5, v31
	v_fma_f16 v56, v58, s7, v29
	v_sub_f16_e32 v59, v20, v17
	v_sub_f16_e32 v60, v22, v24
	v_fma_f16 v29, v58, s5, v29
	v_add_f16_e32 v59, v59, v60
	v_fma_f16 v29, v57, s16, v29
	v_fma_f16 v56, v57, s4, v56
	;; [unrolled: 1-line block ×3, first 2 shown]
	v_add_f16_e32 v29, v23, v25
	v_fma_f16 v29, v29, -0.5, v35
	v_sub_f16_e32 v60, v17, v24
	v_fma_f16 v56, v59, s6, v56
	v_fma_f16 v58, v60, s7, v29
	v_sub_f16_e32 v61, v20, v22
	v_sub_f16_e32 v59, v21, v23
	;; [unrolled: 1-line block ×3, first 2 shown]
	v_fma_f16 v29, v60, s5, v29
	v_fma_f16 v58, v61, s16, v58
	v_add_f16_e32 v59, v59, v62
	v_fma_f16 v29, v61, s4, v29
	v_fma_f16 v64, v59, s6, v58
	v_fma_f16 v58, v59, s6, v29
	v_add_f16_e32 v29, v21, v26
	v_fma_f16 v29, v29, -0.5, v35
	v_fma_f16 v59, v61, s5, v29
	v_sub_f16_e32 v62, v23, v21
	v_sub_f16_e32 v65, v25, v26
	v_fma_f16 v29, v61, s7, v29
	v_add_f16_e32 v62, v62, v65
	v_fma_f16 v29, v60, s4, v29
	v_fma_f16 v59, v60, s16, v59
	;; [unrolled: 1-line block ×3, first 2 shown]
	v_mul_u32_u24_e32 v29, 0x55, v47
	v_add_u32_sdwa v29, v29, v48 dst_sel:DWORD dst_unused:UNUSED_PAD src0_sel:DWORD src1_sel:BYTE_0
	v_add_lshl_u32 v61, v30, v29, 2
	v_pack_b32_f16 v29, v38, v41
	v_pack_b32_f16 v38, v42, v45
	ds_write2_b32 v61, v29, v38 offset1:17
	v_pack_b32_f16 v29, v46, v53
	v_pack_b32_f16 v18, v18, v43
	ds_write2_b32 v61, v29, v18 offset0:34 offset1:51
	v_pack_b32_f16 v18, v44, v69
	ds_write_b32 v61, v18 offset:272
	v_mul_u32_u24_e32 v18, 0x55, v49
	v_add_u32_sdwa v18, v18, v50 dst_sel:DWORD dst_unused:UNUSED_PAD src0_sel:DWORD src1_sel:BYTE_0
	v_fma_f16 v59, v62, s6, v59
	v_add_lshl_u32 v62, v30, v18, 2
	v_pack_b32_f16 v18, v68, v78
	v_pack_b32_f16 v29, v70, v73
	ds_write2_b32 v62, v18, v29 offset1:17
	v_pack_b32_f16 v18, v72, v63
	v_pack_b32_f16 v19, v19, v28
	ds_write2_b32 v62, v18, v19 offset0:34 offset1:51
	v_pack_b32_f16 v18, v71, v74
	ds_write_b32 v62, v18 offset:272
	v_mul_u32_u24_e32 v18, 0x55, v51
	v_add_u32_sdwa v18, v18, v52 dst_sel:DWORD dst_unused:UNUSED_PAD src0_sel:DWORD src1_sel:BYTE_0
	v_add_lshl_u32 v63, v30, v18, 2
	v_pack_b32_f16 v18, v75, v82
	v_pack_b32_f16 v19, v79, v67
	ds_write2_b32 v63, v18, v19 offset1:17
	v_pack_b32_f16 v18, v81, v40
	v_pack_b32_f16 v16, v16, v27
	ds_write2_b32 v63, v18, v16 offset0:34 offset1:51
	v_pack_b32_f16 v16, v80, v76
	ds_write_b32 v63, v16 offset:272
	s_and_saveexec_b64 s[4:5], s[0:1]
	s_cbranch_execz .LBB0_11
; %bb.10:
	v_add_f16_e32 v16, v35, v21
	v_add_f16_e32 v17, v31, v17
	;; [unrolled: 1-line block ×8, first 2 shown]
	v_add_lshl_u32 v18, v30, v132, 2
	s_mov_b32 s6, 0x5040100
	v_pack_b32_f16 v16, v17, v16
	v_perm_b32 v17, v64, v39, s6
	v_add_u32_e32 v19, 0x1200, v18
	ds_write2_b32 v19, v16, v17 offset0:123 offset1:140
	v_perm_b32 v16, v59, v56, s6
	v_perm_b32 v17, v60, v57, s6
	v_add_u32_e32 v19, 0x1400, v18
	ds_write2_b32 v19, v16, v17 offset0:29 offset1:46
	v_perm_b32 v16, v58, v55, s6
	ds_write_b32 v18, v16 offset:5372
.LBB0_11:
	s_or_b64 exec, exec, s[4:5]
	v_mad_u64_u32 v[28:29], s[2:3], v210, 60, s[2:3]
	s_waitcnt lgkmcnt(0)
	s_barrier
	global_load_dwordx4 v[16:19], v[28:29], off offset:272
	global_load_dwordx4 v[20:23], v[28:29], off offset:288
	;; [unrolled: 1-line block ×3, first 2 shown]
	ds_read2_b32 v[40:41], v37 offset1:85
	global_load_dwordx3 v[28:30], v[28:29], off offset:320
	v_add_u32_e32 v48, 0xa00, v37
	v_add_u32_e32 v50, 0xc00, v37
	;; [unrolled: 1-line block ×6, first 2 shown]
	ds_read_b32 v65, v37 offset:680
	ds_read_b32 v66, v37 offset:5100
	ds_read2_b32 v[42:43], v31 offset0:127 offset1:212
	ds_read2_b32 v[44:45], v35 offset0:169 offset1:254
	;; [unrolled: 1-line block ×6, first 2 shown]
	s_waitcnt lgkmcnt(8)
	v_lshrrev_b32_e32 v35, 16, v41
	s_waitcnt lgkmcnt(7)
	v_lshrrev_b32_e32 v38, 16, v65
	;; [unrolled: 2-line block ×4, first 2 shown]
	v_lshrrev_b32_e32 v77, 16, v51
	s_waitcnt lgkmcnt(0)
	v_lshrrev_b32_e32 v78, 16, v52
	v_lshrrev_b32_e32 v79, 16, v53
	;; [unrolled: 1-line block ×11, first 2 shown]
	s_mov_b32 s3, 0xb9a8
	s_movk_i32 s4, 0x39a8
	s_mov_b32 s5, 0xbb64
	s_mov_b32 s6, 0xb61f
	s_movk_i32 s7, 0x361f
	s_movk_i32 s16, 0x3b64
	;; [unrolled: 1-line block ×3, first 2 shown]
	s_waitcnt vmcnt(3)
	v_mul_f16_sdwa v80, v35, v16 dst_sel:DWORD dst_unused:UNUSED_PAD src0_sel:DWORD src1_sel:WORD_1
	v_mul_f16_sdwa v81, v41, v16 dst_sel:DWORD dst_unused:UNUSED_PAD src0_sel:DWORD src1_sel:WORD_1
	s_waitcnt vmcnt(1)
	v_mul_f16_sdwa v100, v76, v26 dst_sel:DWORD dst_unused:UNUSED_PAD src0_sel:DWORD src1_sel:WORD_1
	v_fma_f16 v41, v41, v16, -v80
	v_fma_f16 v80, v50, v26, -v100
	v_mul_f16_sdwa v50, v50, v26 dst_sel:DWORD dst_unused:UNUSED_PAD src0_sel:DWORD src1_sel:WORD_1
	v_fma_f16 v50, v76, v26, v50
	v_mul_f16_sdwa v76, v77, v27 dst_sel:DWORD dst_unused:UNUSED_PAD src0_sel:DWORD src1_sel:WORD_1
	v_fma_f16 v76, v51, v27, -v76
	v_mul_f16_sdwa v51, v51, v27 dst_sel:DWORD dst_unused:UNUSED_PAD src0_sel:DWORD src1_sel:WORD_1
	v_fma_f16 v51, v77, v27, v51
	s_waitcnt vmcnt(0)
	v_mul_f16_sdwa v77, v78, v28 dst_sel:DWORD dst_unused:UNUSED_PAD src0_sel:DWORD src1_sel:WORD_1
	v_fma_f16 v77, v52, v28, -v77
	v_mul_f16_sdwa v52, v52, v28 dst_sel:DWORD dst_unused:UNUSED_PAD src0_sel:DWORD src1_sel:WORD_1
	v_fma_f16 v52, v78, v28, v52
	v_mul_f16_sdwa v78, v79, v29 dst_sel:DWORD dst_unused:UNUSED_PAD src0_sel:DWORD src1_sel:WORD_1
	v_fma_f16 v78, v53, v29, -v78
	v_mul_f16_sdwa v53, v53, v29 dst_sel:DWORD dst_unused:UNUSED_PAD src0_sel:DWORD src1_sel:WORD_1
	v_mul_f16_sdwa v82, v38, v17 dst_sel:DWORD dst_unused:UNUSED_PAD src0_sel:DWORD src1_sel:WORD_1
	;; [unrolled: 1-line block ×9, first 2 shown]
	v_fma_f16 v53, v79, v29, v53
	v_mul_f16_sdwa v79, v67, v30 dst_sel:DWORD dst_unused:UNUSED_PAD src0_sel:DWORD src1_sel:WORD_1
	v_mul_f16_sdwa v87, v43, v19 dst_sel:DWORD dst_unused:UNUSED_PAD src0_sel:DWORD src1_sel:WORD_1
	;; [unrolled: 1-line block ×3, first 2 shown]
	v_fma_f16 v65, v65, v17, -v82
	v_fma_f16 v38, v38, v17, v83
	v_fma_f16 v43, v43, v19, -v86
	v_fma_f16 v45, v45, v21, -v90
	;; [unrolled: 1-line block ×3, first 2 shown]
	v_fma_f16 v73, v73, v23, v95
	v_fma_f16 v49, v49, v25, -v98
	v_fma_f16 v75, v75, v25, v99
	v_fma_f16 v79, v66, v30, -v79
	v_mul_f16_sdwa v66, v66, v30 dst_sel:DWORD dst_unused:UNUSED_PAD src0_sel:DWORD src1_sel:WORD_1
	v_mul_f16_sdwa v85, v42, v18 dst_sel:DWORD dst_unused:UNUSED_PAD src0_sel:DWORD src1_sel:WORD_1
	;; [unrolled: 1-line block ×5, first 2 shown]
	v_fma_f16 v69, v69, v19, v87
	v_fma_f16 v71, v71, v21, v91
	;; [unrolled: 1-line block ×3, first 2 shown]
	v_sub_f16_e32 v47, v40, v47
	v_sub_f16_e32 v67, v31, v73
	;; [unrolled: 1-line block ×6, first 2 shown]
	v_mul_f16_sdwa v84, v68, v18 dst_sel:DWORD dst_unused:UNUSED_PAD src0_sel:DWORD src1_sel:WORD_1
	v_mul_f16_sdwa v88, v70, v20 dst_sel:DWORD dst_unused:UNUSED_PAD src0_sel:DWORD src1_sel:WORD_1
	;; [unrolled: 1-line block ×4, first 2 shown]
	v_fma_f16 v35, v35, v16, v81
	v_fma_f16 v68, v68, v18, v85
	;; [unrolled: 1-line block ×5, first 2 shown]
	v_fma_f16 v40, v40, 2.0, -v47
	v_sub_f16_e32 v51, v69, v51
	v_fma_f16 v43, v43, 2.0, -v73
	v_fma_f16 v65, v65, 2.0, -v49
	v_sub_f16_e32 v53, v71, v53
	v_fma_f16 v45, v45, 2.0, -v76
	v_add_f16_e32 v73, v67, v73
	v_add_f16_e32 v76, v75, v76
	v_fma_f16 v42, v42, v18, -v84
	v_fma_f16 v44, v44, v20, -v88
	;; [unrolled: 1-line block ×4, first 2 shown]
	v_fma_f16 v31, v31, 2.0, -v67
	v_fma_f16 v69, v69, 2.0, -v51
	;; [unrolled: 1-line block ×4, first 2 shown]
	v_sub_f16_e32 v74, v35, v74
	v_sub_f16_e32 v52, v70, v52
	;; [unrolled: 1-line block ×6, first 2 shown]
	v_fma_f16 v67, v67, 2.0, -v73
	v_sub_f16_e32 v45, v65, v45
	v_sub_f16_e32 v53, v49, v53
	v_fma_f16 v75, v75, 2.0, -v76
	v_sub_f16_e32 v48, v41, v48
	v_fma_f16 v35, v35, 2.0, -v74
	;; [unrolled: 2-line block ×5, first 2 shown]
	v_fma_f16 v40, v40, 2.0, -v43
	v_fma_f16 v47, v47, 2.0, -v51
	v_sub_f16_e32 v71, v38, v71
	v_fma_f16 v65, v65, 2.0, -v45
	v_fma_f16 v49, v49, 2.0, -v53
	v_fma_f16 v81, v75, s3, v67
	v_fma_f16 v44, v44, 2.0, -v77
	v_fma_f16 v46, v46, 2.0, -v79
	v_sub_f16_e32 v69, v31, v69
	v_sub_f16_e32 v70, v35, v70
	;; [unrolled: 1-line block ×3, first 2 shown]
	v_add_f16_e32 v77, v74, v77
	v_sub_f16_e32 v72, v68, v72
	v_sub_f16_e32 v66, v78, v66
	v_add_f16_e32 v79, v50, v79
	v_sub_f16_e32 v80, v40, v65
	v_fma_f16 v65, v49, s3, v47
	v_fma_f16 v49, v49, s4, v81
	v_sub_f16_e32 v81, v43, v71
	v_fma_f16 v41, v41, 2.0, -v48
	v_fma_f16 v42, v42, 2.0, -v78
	;; [unrolled: 1-line block ×10, first 2 shown]
	v_fma_f16 v75, v75, s3, v65
	v_add_f16_e32 v82, v69, v45
	v_fma_f16 v45, v43, 2.0, -v81
	v_fma_f16 v43, v53, s4, v51
	v_fma_f16 v65, v76, s4, v73
	v_sub_f16_e32 v44, v41, v44
	v_sub_f16_e32 v46, v42, v46
	;; [unrolled: 1-line block ×3, first 2 shown]
	v_fma_f16 v83, v76, s3, v43
	v_fma_f16 v84, v53, s4, v65
	v_sub_f16_e32 v85, v35, v68
	v_fma_f16 v43, v78, s3, v48
	v_fma_f16 v65, v50, s3, v74
	v_fma_f16 v41, v41, 2.0, -v44
	v_fma_f16 v42, v42, 2.0, -v46
	;; [unrolled: 1-line block ×4, first 2 shown]
	v_fma_f16 v86, v50, s3, v43
	v_fma_f16 v87, v78, s4, v65
	v_fma_f16 v47, v47, 2.0, -v75
	v_fma_f16 v67, v67, 2.0, -v49
	;; [unrolled: 1-line block ×3, first 2 shown]
	v_sub_f16_e32 v42, v41, v42
	v_fma_f16 v48, v48, 2.0, -v86
	v_fma_f16 v50, v74, 2.0, -v87
	v_sub_f16_e32 v88, v44, v72
	v_add_f16_e32 v89, v70, v46
	v_fma_f16 v43, v66, s4, v52
	v_fma_f16 v46, v79, s4, v77
	v_sub_f16_e32 v69, v31, v35
	v_fma_f16 v40, v40, 2.0, -v80
	v_fma_f16 v41, v41, 2.0, -v42
	;; [unrolled: 1-line block ×4, first 2 shown]
	v_fma_f16 v90, v79, s3, v43
	v_fma_f16 v91, v66, s4, v46
	v_fma_f16 v65, v31, 2.0, -v69
	v_fma_f16 v31, v48, s5, v47
	v_fma_f16 v35, v50, s5, v67
	v_fma_f16 v51, v51, 2.0, -v83
	v_fma_f16 v53, v73, 2.0, -v84
	;; [unrolled: 1-line block ×4, first 2 shown]
	v_sub_f16_e32 v43, v40, v41
	v_fma_f16 v46, v50, s6, v31
	v_fma_f16 v72, v48, s7, v35
	v_fma_f16 v31, v44, s3, v45
	v_fma_f16 v35, v68, s3, v71
	v_fma_f16 v66, v40, 2.0, -v43
	v_fma_f16 v40, v47, 2.0, -v46
	v_fma_f16 v47, v68, s3, v31
	v_fma_f16 v73, v44, s4, v35
	;; [unrolled: 1-line block ×8, first 2 shown]
	v_fma_f16 v44, v51, 2.0, -v50
	v_sub_f16_e32 v51, v80, v85
	v_fma_f16 v52, v87, s5, v31
	v_fma_f16 v79, v86, s16, v35
	;; [unrolled: 1-line block ×4, first 2 shown]
	v_fma_f16 v41, v45, 2.0, -v47
	v_fma_f16 v70, v53, 2.0, -v76
	v_add_f16_e32 v78, v38, v42
	v_fma_f16 v45, v80, 2.0, -v51
	v_fma_f16 v53, v89, s3, v31
	v_fma_f16 v80, v88, s4, v35
	;; [unrolled: 1-line block ×4, first 2 shown]
	v_fma_f16 v67, v67, 2.0, -v72
	v_fma_f16 v68, v71, 2.0, -v73
	;; [unrolled: 1-line block ×5, first 2 shown]
	v_fma_f16 v38, v91, s6, v31
	v_fma_f16 v81, v90, s7, v35
	v_lshl_add_u32 v31, v210, 2, v207
	v_pack_b32_f16 v35, v66, v65
	v_fma_f16 v48, v75, 2.0, -v52
	v_fma_f16 v75, v82, 2.0, -v80
	ds_write_b32 v31, v35
	v_pack_b32_f16 v35, v40, v67
	v_pack_b32_f16 v82, v41, v68
	v_fma_f16 v77, v84, 2.0, -v81
	ds_write2_b32 v31, v35, v82 offset0:85 offset1:170
	v_pack_b32_f16 v35, v44, v70
	v_pack_b32_f16 v82, v45, v71
	v_add_u32_e32 v84, 0x200, v31
	v_fma_f16 v42, v83, 2.0, -v38
	ds_write2_b32 v84, v35, v82 offset0:127 offset1:212
	v_pack_b32_f16 v35, v48, v74
	v_pack_b32_f16 v82, v49, v75
	v_add_u32_e32 v86, 0x400, v31
	ds_write2_b32 v86, v35, v82 offset0:169 offset1:254
	v_pack_b32_f16 v35, v42, v77
	v_pack_b32_f16 v82, v43, v69
	v_add_u32_e32 v87, 0x800, v31
	;; [unrolled: 4-line block ×5, first 2 shown]
	ds_write2_b32 v82, v35, v88 offset0:81 offset1:166
	v_pack_b32_f16 v35, v38, v81
	ds_write_b32 v31, v35 offset:5100
	s_waitcnt lgkmcnt(0)
	s_barrier
	s_and_saveexec_b64 s[4:5], vcc
	s_cbranch_execz .LBB0_13
; %bb.12:
	s_add_u32 s6, s12, 0x1540
	s_addc_u32 s7, s13, 0
	global_load_dword v90, v34, s[6:7]
	global_load_dword v98, v34, s[6:7] offset:320
	global_load_dword v99, v34, s[6:7] offset:640
	;; [unrolled: 1-line block ×9, first 2 shown]
	v_mov_b32_e32 v35, 0
	ds_read_b32 v91, v31
	v_lshl_add_u64 v[88:89], s[6:7], 0, v[34:35]
	global_load_dword v35, v34, s[6:7] offset:3200
	global_load_dword v107, v34, s[6:7] offset:3520
	;; [unrolled: 1-line block ×3, first 2 shown]
	v_add_co_u32_e64 v88, s[2:3], s2, v88
	v_or_b32_e32 v92, 0x1400, v34
	s_nop 0
	v_addc_co_u32_e64 v89, s[2:3], 0, v89, s[2:3]
	global_load_dword v109, v[88:89], off offset:64
	global_load_dword v110, v[88:89], off offset:384
	;; [unrolled: 1-line block ×3, first 2 shown]
	global_load_dword v112, v92, s[6:7]
	s_waitcnt lgkmcnt(0)
	v_lshrrev_b32_e32 v88, 16, v91
	s_waitcnt vmcnt(16)
	v_mul_f16_sdwa v89, v88, v90 dst_sel:DWORD dst_unused:UNUSED_PAD src0_sel:DWORD src1_sel:WORD_1
	v_mul_f16_sdwa v92, v91, v90 dst_sel:DWORD dst_unused:UNUSED_PAD src0_sel:DWORD src1_sel:WORD_1
	v_fma_f16 v89, v91, v90, -v89
	v_fma_f16 v88, v88, v90, v92
	v_pack_b32_f16 v88, v89, v88
	ds_write_b32 v31, v88
	ds_read2_b32 v[88:89], v31 offset0:80 offset1:160
	ds_read2_b32 v[90:91], v84 offset0:112 offset1:192
	;; [unrolled: 1-line block ×5, first 2 shown]
	s_waitcnt lgkmcnt(4)
	v_lshrrev_b32_e32 v113, 16, v88
	s_waitcnt vmcnt(15)
	v_mul_f16_sdwa v114, v88, v98 dst_sel:DWORD dst_unused:UNUSED_PAD src0_sel:DWORD src1_sel:WORD_1
	v_lshrrev_b32_e32 v115, 16, v89
	s_waitcnt vmcnt(14)
	v_mul_f16_sdwa v116, v89, v99 dst_sel:DWORD dst_unused:UNUSED_PAD src0_sel:DWORD src1_sel:WORD_1
	s_waitcnt lgkmcnt(3)
	v_lshrrev_b32_e32 v117, 16, v90
	s_waitcnt vmcnt(13)
	v_mul_f16_sdwa v118, v90, v100 dst_sel:DWORD dst_unused:UNUSED_PAD src0_sel:DWORD src1_sel:WORD_1
	v_lshrrev_b32_e32 v119, 16, v91
	s_waitcnt vmcnt(12)
	v_mul_f16_sdwa v120, v91, v101 dst_sel:DWORD dst_unused:UNUSED_PAD src0_sel:DWORD src1_sel:WORD_1
	;; [unrolled: 7-line block ×3, first 2 shown]
	s_waitcnt lgkmcnt(1)
	v_lshrrev_b32_e32 v125, 16, v94
	s_waitcnt vmcnt(9)
	v_mul_f16_sdwa v126, v94, v104 dst_sel:DWORD dst_unused:UNUSED_PAD src0_sel:DWORD src1_sel:WORD_1
	v_lshrrev_b32_e32 v127, 16, v95
	v_mul_f16_sdwa v131, v113, v98 dst_sel:DWORD dst_unused:UNUSED_PAD src0_sel:DWORD src1_sel:WORD_1
	v_fma_f16 v113, v113, v98, v114
	v_mul_f16_sdwa v114, v115, v99 dst_sel:DWORD dst_unused:UNUSED_PAD src0_sel:DWORD src1_sel:WORD_1
	s_waitcnt vmcnt(8)
	v_mul_f16_sdwa v128, v95, v105 dst_sel:DWORD dst_unused:UNUSED_PAD src0_sel:DWORD src1_sel:WORD_1
	v_fma_f16 v115, v115, v99, v116
	v_mul_f16_sdwa v116, v117, v100 dst_sel:DWORD dst_unused:UNUSED_PAD src0_sel:DWORD src1_sel:WORD_1
	v_fma_f16 v117, v117, v100, v118
	;; [unrolled: 2-line block ×6, first 2 shown]
	v_mul_f16_sdwa v126, v127, v105 dst_sel:DWORD dst_unused:UNUSED_PAD src0_sel:DWORD src1_sel:WORD_1
	v_fma_f16 v88, v88, v98, -v131
	v_fma_f16 v89, v89, v99, -v114
	v_fma_f16 v127, v127, v105, v128
	v_fma_f16 v90, v90, v100, -v116
	v_fma_f16 v91, v91, v101, -v118
	;; [unrolled: 1-line block ×6, first 2 shown]
	v_pack_b32_f16 v88, v88, v113
	v_pack_b32_f16 v89, v89, v115
	;; [unrolled: 1-line block ×8, first 2 shown]
	ds_write2_b32 v31, v88, v89 offset0:80 offset1:160
	ds_write2_b32 v84, v90, v91 offset0:112 offset1:192
	;; [unrolled: 1-line block ×4, first 2 shown]
	s_waitcnt lgkmcnt(4)
	v_lshrrev_b32_e32 v88, 16, v97
	s_waitcnt vmcnt(6)
	v_mul_f16_sdwa v86, v88, v35 dst_sel:DWORD dst_unused:UNUSED_PAD src0_sel:DWORD src1_sel:WORD_1
	v_fma_f16 v89, v97, v35, -v86
	ds_read2_b32 v[86:87], v83 offset0:112 offset1:192
	v_lshrrev_b32_e32 v129, 16, v96
	v_mul_f16_sdwa v130, v96, v106 dst_sel:DWORD dst_unused:UNUSED_PAD src0_sel:DWORD src1_sel:WORD_1
	v_mul_f16_sdwa v128, v129, v106 dst_sel:DWORD dst_unused:UNUSED_PAD src0_sel:DWORD src1_sel:WORD_1
	;; [unrolled: 1-line block ×3, first 2 shown]
	v_fma_f16 v129, v129, v106, v130
	v_fma_f16 v96, v96, v106, -v128
	v_fma_f16 v35, v88, v35, v90
	v_pack_b32_f16 v84, v96, v129
	v_pack_b32_f16 v35, v89, v35
	ds_write2_b32 v85, v84, v35 offset0:80 offset1:160
	s_waitcnt lgkmcnt(1)
	v_lshrrev_b32_e32 v35, 16, v86
	s_waitcnt vmcnt(5)
	v_mul_f16_sdwa v84, v35, v107 dst_sel:DWORD dst_unused:UNUSED_PAD src0_sel:DWORD src1_sel:WORD_1
	v_mul_f16_sdwa v85, v86, v107 dst_sel:DWORD dst_unused:UNUSED_PAD src0_sel:DWORD src1_sel:WORD_1
	v_fma_f16 v84, v86, v107, -v84
	v_fma_f16 v35, v35, v107, v85
	v_lshrrev_b32_e32 v86, 16, v87
	v_pack_b32_f16 v35, v84, v35
	s_waitcnt vmcnt(4)
	v_mul_f16_sdwa v84, v86, v108 dst_sel:DWORD dst_unused:UNUSED_PAD src0_sel:DWORD src1_sel:WORD_1
	v_fma_f16 v88, v87, v108, -v84
	ds_read2_b32 v[84:85], v82 offset0:16 offset1:96
	v_mul_f16_sdwa v87, v87, v108 dst_sel:DWORD dst_unused:UNUSED_PAD src0_sel:DWORD src1_sel:WORD_1
	v_fma_f16 v86, v86, v108, v87
	v_pack_b32_f16 v86, v88, v86
	ds_write2_b32 v83, v35, v86 offset0:112 offset1:192
	s_waitcnt lgkmcnt(1)
	v_lshrrev_b32_e32 v35, 16, v84
	s_waitcnt vmcnt(3)
	v_mul_f16_sdwa v83, v35, v109 dst_sel:DWORD dst_unused:UNUSED_PAD src0_sel:DWORD src1_sel:WORD_1
	v_fma_f16 v83, v84, v109, -v83
	v_mul_f16_sdwa v84, v84, v109 dst_sel:DWORD dst_unused:UNUSED_PAD src0_sel:DWORD src1_sel:WORD_1
	v_fma_f16 v35, v35, v109, v84
	v_add_u32_e32 v88, 0x1200, v31
	v_pack_b32_f16 v35, v83, v35
	v_lshrrev_b32_e32 v83, 16, v85
	ds_read2_b32 v[86:87], v88 offset0:48 offset1:128
	s_waitcnt vmcnt(2)
	v_mul_f16_sdwa v84, v83, v110 dst_sel:DWORD dst_unused:UNUSED_PAD src0_sel:DWORD src1_sel:WORD_1
	v_fma_f16 v84, v85, v110, -v84
	v_mul_f16_sdwa v85, v85, v110 dst_sel:DWORD dst_unused:UNUSED_PAD src0_sel:DWORD src1_sel:WORD_1
	v_fma_f16 v83, v83, v110, v85
	v_pack_b32_f16 v83, v84, v83
	ds_write2_b32 v82, v35, v83 offset0:16 offset1:96
	s_waitcnt lgkmcnt(1)
	v_lshrrev_b32_e32 v35, 16, v86
	s_waitcnt vmcnt(1)
	v_mul_f16_sdwa v82, v35, v111 dst_sel:DWORD dst_unused:UNUSED_PAD src0_sel:DWORD src1_sel:WORD_1
	v_mul_f16_sdwa v83, v86, v111 dst_sel:DWORD dst_unused:UNUSED_PAD src0_sel:DWORD src1_sel:WORD_1
	v_fma_f16 v82, v86, v111, -v82
	v_fma_f16 v35, v35, v111, v83
	v_pack_b32_f16 v35, v82, v35
	v_lshrrev_b32_e32 v82, 16, v87
	s_waitcnt vmcnt(0)
	v_mul_f16_sdwa v83, v82, v112 dst_sel:DWORD dst_unused:UNUSED_PAD src0_sel:DWORD src1_sel:WORD_1
	v_mul_f16_sdwa v84, v87, v112 dst_sel:DWORD dst_unused:UNUSED_PAD src0_sel:DWORD src1_sel:WORD_1
	v_fma_f16 v83, v87, v112, -v83
	v_fma_f16 v82, v82, v112, v84
	v_pack_b32_f16 v82, v83, v82
	ds_write2_b32 v88, v35, v82 offset0:48 offset1:128
.LBB0_13:
	s_or_b64 exec, exec, s[4:5]
	s_waitcnt lgkmcnt(0)
	s_barrier
	s_and_saveexec_b64 s[2:3], vcc
	s_cbranch_execz .LBB0_15
; %bb.14:
	v_add_u32_e32 v35, 0x200, v31
	ds_read_b32 v66, v31
	ds_read2_b32 v[40:41], v31 offset0:80 offset1:160
	ds_read2_b32 v[44:45], v35 offset0:112 offset1:192
	v_add_u32_e32 v35, 0x400, v31
	ds_read2_b32 v[48:49], v35 offset0:144 offset1:224
	v_add_u32_e32 v35, 0x800, v31
	ds_read2_b32 v[42:43], v35 offset0:48 offset1:128
	v_add_u32_e32 v35, 0xa00, v31
	ds_read2_b32 v[46:47], v35 offset0:80 offset1:160
	v_add_u32_e32 v35, 0xc00, v31
	ds_read2_b32 v[50:51], v35 offset0:112 offset1:192
	v_add_u32_e32 v35, 0x1000, v31
	ds_read2_b32 v[52:53], v35 offset0:16 offset1:96
	v_add_u32_e32 v35, 0x1200, v31
	ds_read2_b32 v[38:39], v35 offset0:48 offset1:128
	s_waitcnt lgkmcnt(8)
	v_lshrrev_b32_e32 v65, 16, v66
	s_waitcnt lgkmcnt(7)
	v_lshrrev_b32_e32 v67, 16, v40
	v_lshrrev_b32_e32 v68, 16, v41
	s_waitcnt lgkmcnt(6)
	v_lshrrev_b32_e32 v70, 16, v44
	;; [unrolled: 3-line block ×8, first 2 shown]
	v_lshrrev_b32_e32 v64, 16, v39
.LBB0_15:
	s_or_b64 exec, exec, s[2:3]
	v_sub_f16_e32 v159, v67, v64
	v_add_f16_e32 v95, v39, v40
	v_add_f16_e32 v100, v64, v67
	s_movk_i32 s4, 0x3b76
	v_mul_f16_e32 v85, 0xb5c8, v159
	v_sub_f16_e32 v160, v68, v81
	v_sub_f16_e32 v161, v40, v39
	s_mov_b32 s2, 0xb5c8
	v_mul_f16_e32 v87, 0x3b76, v100
	v_fma_f16 v35, v95, s4, -v85
	s_movk_i32 s5, 0x39e9
	v_add_f16_e32 v101, v38, v41
	v_add_f16_e32 v107, v81, v68
	v_mul_f16_e32 v86, 0xb964, v160
	v_add_f16_e32 v35, v66, v35
	v_fma_f16 v82, v161, s2, v87
	s_mov_b32 s2, 0xb964
	v_mul_f16_e32 v90, 0xb964, v159
	v_sub_f16_e32 v163, v41, v38
	v_mul_f16_e32 v88, 0x39e9, v107
	v_fma_f16 v89, v101, s5, -v86
	v_add_f16_e32 v82, v65, v82
	v_mul_f16_e32 v94, 0x39e9, v100
	v_fma_f16 v83, v95, s5, -v90
	v_add_f16_e32 v35, v89, v35
	v_fma_f16 v89, v163, s2, v88
	s_movk_i32 s6, 0x2de8
	v_mul_f16_e32 v93, 0xbbf7, v160
	v_add_f16_e32 v83, v66, v83
	v_fma_f16 v84, v161, s2, v94
	v_add_f16_e32 v82, v89, v82
	s_mov_b32 s2, 0xbbf7
	v_mul_f16_e32 v98, 0x2de8, v107
	v_fma_f16 v89, v101, s6, -v93
	v_add_f16_e32 v84, v65, v84
	v_add_f16_e32 v83, v89, v83
	v_fma_f16 v89, v163, s2, v98
	v_sub_f16_e32 v162, v70, v80
	v_add_f16_e32 v84, v89, v84
	v_add_f16_e32 v106, v53, v44
	;; [unrolled: 1-line block ×3, first 2 shown]
	s_movk_i32 s7, 0x3722
	v_mul_f16_e32 v89, 0xbb29, v162
	v_sub_f16_e32 v165, v44, v53
	s_mov_b32 s3, 0xbb29
	v_mul_f16_e32 v92, 0x3722, v112
	v_fma_f16 v91, v106, s7, -v89
	v_add_f16_e32 v35, v91, v35
	v_fma_f16 v91, v165, s3, v92
	s_mov_b32 s16, 0xb8d2
	v_mul_f16_e32 v99, 0xba62, v162
	v_add_f16_e32 v82, v91, v82
	s_mov_b32 s3, 0xba62
	v_mul_f16_e32 v105, 0xb8d2, v112
	v_fma_f16 v91, v106, s16, -v99
	v_add_f16_e32 v83, v91, v83
	v_fma_f16 v91, v165, s3, v105
	v_sub_f16_e32 v164, v71, v79
	v_add_f16_e32 v84, v91, v84
	v_add_f16_e32 v113, v52, v45
	;; [unrolled: 1-line block ×3, first 2 shown]
	v_mul_f16_e32 v91, 0xbbf7, v164
	v_sub_f16_e32 v167, v45, v52
	v_mul_f16_e32 v96, 0x2de8, v119
	v_fma_f16 v97, v113, s6, -v91
	v_add_f16_e32 v35, v97, v35
	v_fma_f16 v97, v167, s2, v96
	s_mov_b32 s17, 0xbbdd
	v_mul_f16_e32 v104, 0xb1e1, v164
	v_add_f16_e32 v82, v97, v82
	s_mov_b32 s2, 0xb1e1
	v_mul_f16_e32 v110, 0xbbdd, v119
	v_fma_f16 v97, v113, s17, -v104
	v_add_f16_e32 v83, v97, v83
	v_fma_f16 v97, v167, s2, v110
	v_sub_f16_e32 v166, v74, v78
	v_add_f16_e32 v84, v97, v84
	v_add_f16_e32 v118, v51, v48
	;; [unrolled: 1-line block ×3, first 2 shown]
	s_mov_b32 s18, 0xb461
	v_mul_f16_e32 v97, 0xbbb2, v166
	v_sub_f16_e32 v169, v48, v51
	s_mov_b32 s19, 0xbbb2
	v_mul_f16_e32 v103, 0xb461, v124
	v_fma_f16 v102, v118, s18, -v97
	v_add_f16_e32 v35, v102, v35
	v_fma_f16 v102, v169, s19, v103
	s_mov_b32 s19, 0xbacd
	v_mul_f16_e32 v111, 0x3836, v166
	v_add_f16_e32 v82, v102, v82
	s_movk_i32 s20, 0x3836
	v_mul_f16_e32 v117, 0xbacd, v124
	v_fma_f16 v102, v118, s19, -v111
	v_add_f16_e32 v83, v102, v83
	v_fma_f16 v102, v169, s20, v117
	v_sub_f16_e32 v168, v75, v76
	v_add_f16_e32 v84, v102, v84
	v_add_f16_e32 v125, v50, v49
	;; [unrolled: 1-line block ×3, first 2 shown]
	v_mul_f16_e32 v102, 0xba62, v168
	v_sub_f16_e32 v171, v49, v50
	v_mul_f16_e32 v109, 0xb8d2, v135
	v_fma_f16 v108, v125, s16, -v102
	v_add_f16_e32 v35, v108, v35
	v_fma_f16 v108, v171, s3, v109
	v_mul_f16_e32 v116, 0x3bb2, v168
	v_add_f16_e32 v82, v108, v82
	s_movk_i32 s3, 0x3bb2
	v_mul_f16_e32 v123, 0xb461, v135
	v_fma_f16 v108, v125, s18, -v116
	v_add_f16_e32 v83, v108, v83
	v_fma_f16 v108, v171, s3, v123
	v_sub_f16_e32 v170, v77, v73
	v_add_f16_e32 v84, v108, v84
	v_add_f16_e32 v133, v47, v42
	;; [unrolled: 1-line block ×3, first 2 shown]
	v_mul_f16_e32 v108, 0xb836, v170
	v_sub_f16_e32 v173, v42, v47
	s_mov_b32 s3, 0xb836
	v_mul_f16_e32 v115, 0xbacd, v146
	v_fma_f16 v114, v133, s19, -v108
	v_add_f16_e32 v35, v114, v35
	v_fma_f16 v114, v173, s3, v115
	v_mul_f16_e32 v122, 0x3b29, v170
	v_add_f16_e32 v82, v114, v82
	s_movk_i32 s3, 0x3b29
	v_mul_f16_e32 v130, 0x3722, v146
	v_fma_f16 v114, v133, s7, -v122
	v_sub_f16_e32 v172, v69, v72
	v_add_f16_e32 v121, v114, v83
	v_fma_f16 v83, v173, s3, v130
	v_add_f16_e32 v144, v46, v43
	v_add_f16_e32 v155, v72, v69
	v_mul_f16_e32 v114, 0xb1e1, v172
	v_add_f16_e32 v126, v83, v84
	v_sub_f16_e32 v174, v43, v46
	v_mul_f16_e32 v120, 0xbbdd, v155
	v_fma_f16 v83, v144, s17, -v114
	v_add_f16_e32 v83, v83, v35
	v_fma_f16 v35, v174, s2, v120
	s_movk_i32 s2, 0x35c8
	v_mul_f16_e32 v128, 0x35c8, v172
	v_mul_f16_e32 v141, 0x3b76, v155
	v_add_f16_e32 v84, v35, v82
	v_fma_f16 v35, v144, s4, -v128
	v_fma_f16 v82, v174, s2, v141
	v_add_f16_e32 v35, v35, v121
	v_add_f16_e32 v82, v82, v126
	s_barrier
	s_and_saveexec_b64 s[2:3], vcc
	s_cbranch_execz .LBB0_17
; %bb.16:
	v_mul_f16_e32 v32, 0x3b76, v95
	v_accvgpr_write_b32 a4, v32
	v_mul_f16_e32 v32, 0xb5c8, v161
	v_accvgpr_write_b32 a13, v32
	;; [unrolled: 2-line block ×4, first 2 shown]
	v_mul_f16_e32 v32, 0x3722, v106
	v_mul_f16_e32 v184, 0xbb29, v161
	v_accvgpr_write_b32 a6, v32
	v_mul_f16_e32 v32, 0xbb29, v165
	v_fma_f16 v121, v100, s7, v184
	v_mul_f16_e32 v185, 0xba62, v163
	v_accvgpr_write_b32 a15, v32
	v_mul_f16_e32 v32, 0x2de8, v113
	v_add_f16_e32 v121, v65, v121
	v_fma_f16 v134, v107, s16, v185
	v_mul_f16_e32 v186, 0x31e1, v165
	v_accvgpr_write_b32 a7, v32
	v_mul_f16_e32 v32, 0xbbf7, v167
	v_add_f16_e32 v121, v134, v121
	;; [unrolled: 5-line block ×7, first 2 shown]
	v_fma_f16 v134, v155, s19, v191
	v_mul_f16_e32 v192, 0xbb29, v159
	v_accvgpr_write_b32 a12, v32
	v_add_f16_e32 v32, v134, v121
	v_fma_f16 v134, v95, s7, -v192
	v_mul_f16_e32 v193, 0xba62, v160
	v_add_f16_e32 v134, v66, v134
	v_fma_f16 v151, v101, s16, -v193
	v_mul_f16_e32 v194, 0x31e1, v162
	;; [unrolled: 3-line block ×8, first 2 shown]
	v_accvgpr_write_b32 a3, v32
	v_add_f16_e32 v32, v151, v134
	v_fma_f16 v151, v100, s6, v200
	v_mul_f16_e32 v201, 0xb1e1, v163
	v_add_f16_e32 v151, v65, v151
	v_fma_f16 v202, v107, s17, v201
	v_add_f16_e32 v151, v202, v151
	v_mul_f16_e32 v202, 0x3bb2, v165
	v_fma_f16 v203, v112, s18, v202
	v_add_f16_e32 v151, v203, v151
	v_mul_f16_e32 v203, 0x35c8, v167
	;; [unrolled: 3-line block ×5, first 2 shown]
	v_accvgpr_write_b32 a1, v207
	v_fma_f16 v207, v146, s16, v206
	v_add_f16_e32 v151, v207, v151
	v_mul_f16_e32 v207, 0x3964, v174
	v_fma_f16 v208, v155, s5, v207
	v_add_f16_e32 v151, v208, v151
	v_mul_f16_e32 v208, 0xbbf7, v159
	v_fma_f16 v209, v95, s6, -v208
	v_accvgpr_write_b32 a0, v210
	v_mul_f16_e32 v210, 0xb1e1, v160
	v_add_f16_e32 v209, v66, v209
	v_fma_f16 v211, v101, s17, -v210
	v_add_f16_e32 v209, v211, v209
	v_mul_f16_e32 v211, 0x3bb2, v162
	v_fma_f16 v212, v106, s18, -v211
	v_add_f16_e32 v209, v212, v209
	v_mul_f16_e32 v212, 0x35c8, v164
	;; [unrolled: 3-line block ×7, first 2 shown]
	v_fma_f16 v218, v100, s18, v217
	v_mul_f16_e32 v219, 0x3836, v163
	v_add_f16_e32 v218, v65, v218
	v_fma_f16 v220, v107, s19, v219
	v_add_f16_e32 v218, v220, v218
	v_mul_f16_e32 v220, 0x3964, v165
	v_fma_f16 v221, v112, s5, v220
	v_add_f16_e32 v218, v221, v218
	v_mul_f16_e32 v221, 0xbb29, v167
	;; [unrolled: 3-line block ×7, first 2 shown]
	v_fma_f16 v227, v95, s18, -v226
	v_mul_f16_e32 v228, 0x3836, v160
	v_add_f16_e32 v227, v66, v227
	v_fma_f16 v229, v101, s19, -v228
	v_add_f16_e32 v227, v229, v227
	v_mul_f16_e32 v229, 0x3964, v162
	v_fma_f16 v230, v106, s5, -v229
	v_add_f16_e32 v227, v230, v227
	v_mul_f16_e32 v230, 0xbb29, v164
	;; [unrolled: 3-line block ×7, first 2 shown]
	v_fma_f16 v236, v100, s16, v235
	v_mul_f16_e32 v237, 0x3bb2, v163
	v_add_f16_e32 v236, v65, v236
	v_fma_f16 v238, v107, s18, v237
	v_add_f16_e32 v236, v238, v236
	v_mul_f16_e32 v238, 0xb5c8, v165
	v_fma_f16 v239, v112, s4, v238
	v_add_f16_e32 v236, v239, v236
	v_mul_f16_e32 v239, 0xb836, v167
	;; [unrolled: 3-line block ×7, first 2 shown]
	v_fma_f16 v245, v95, s16, -v244
	v_mul_f16_e32 v246, 0x3bb2, v160
	v_add_f16_e32 v245, v66, v245
	v_fma_f16 v247, v101, s18, -v246
	v_add_f16_e32 v245, v247, v245
	v_mul_f16_e32 v247, 0xb5c8, v162
	v_fma_f16 v248, v106, s4, -v247
	v_add_f16_e32 v245, v248, v245
	v_mul_f16_e32 v248, 0xb836, v164
	;; [unrolled: 3-line block ×7, first 2 shown]
	v_fma_f16 v254, v100, s19, v253
	v_mul_f16_e32 v255, 0x3b29, v163
	v_add_f16_e32 v254, v65, v254
	v_fma_f16 v33, v107, s7, v255
	v_add_f16_e32 v33, v33, v254
	v_mul_f16_e32 v254, 0xbbf7, v165
	v_fma_f16 v54, v112, s6, v254
	v_add_f16_e32 v33, v54, v33
	v_mul_f16_e32 v54, 0x3a62, v167
	;; [unrolled: 3-line block ×7, first 2 shown]
	v_accvgpr_write_b32 a9, v32
	v_accvgpr_write_b32 a2, v132
	v_fma_f16 v132, v95, s19, -v131
	v_mul_f16_e32 v32, 0x3b29, v160
	v_add_f16_e32 v132, v66, v132
	v_fma_f16 v134, v101, s7, -v32
	v_add_f16_e32 v132, v134, v132
	v_mul_f16_e32 v134, 0xbbf7, v162
	v_fma_f16 v136, v106, s6, -v134
	v_add_f16_e32 v132, v136, v132
	v_mul_f16_e32 v136, 0x3a62, v164
	;; [unrolled: 3-line block ×7, first 2 shown]
	v_mul_f16_e32 v175, 0xb964, v161
	v_mul_f16_e32 v176, 0xbbf7, v163
	v_fma_f16 v161, v100, s17, v142
	v_mul_f16_e32 v163, 0x35c8, v163
	v_add_f16_e32 v161, v65, v161
	v_fma_f16 v143, v107, s4, v163
	v_add_f16_e32 v143, v143, v161
	v_mul_f16_e32 v161, 0xb836, v165
	v_mul_f16_e32 v177, 0xba62, v165
	v_fma_f16 v165, v112, s19, v161
	v_add_f16_e32 v143, v165, v143
	v_mul_f16_e32 v165, 0x3964, v167
	v_mul_f16_e32 v178, 0xb1e1, v167
	;; [unrolled: 4-line block ×4, first 2 shown]
	v_mul_f16_e32 v180, 0x3bb2, v171
	v_fma_f16 v171, v135, s7, v169
	v_add_f16_e32 v143, v171, v143
	v_mul_f16_e32 v171, 0xbbb2, v173
	v_mul_f16_e32 v148, 0xb836, v173
	;; [unrolled: 1-line block ×3, first 2 shown]
	v_fma_f16 v173, v146, s18, v171
	v_add_f16_e32 v143, v173, v143
	v_mul_f16_e32 v173, 0x3bf7, v174
	v_mul_f16_e32 v149, 0xb1e1, v174
	;; [unrolled: 1-line block ×3, first 2 shown]
	v_fma_f16 v174, v155, s6, v173
	v_mul_f16_e32 v159, 0xb1e1, v159
	v_add_f16_e32 v143, v174, v143
	v_fma_f16 v174, v95, s17, -v159
	v_mul_f16_e32 v160, 0x35c8, v160
	v_fma_f16 v159, v95, s17, v159
	v_fma_f16 v145, v101, s4, -v160
	v_mul_f16_e32 v162, 0xb836, v162
	v_fma_f16 v142, v100, s17, -v142
	v_add_f16_e32 v159, v66, v159
	v_fma_f16 v160, v101, s4, v160
	v_mul_f16_e32 v164, 0x3964, v164
	v_add_f16_e32 v142, v65, v142
	v_fma_f16 v163, v107, s4, -v163
	v_add_f16_e32 v159, v160, v159
	v_fma_f16 v160, v106, s19, v162
	v_mul_f16_e32 v166, 0xba62, v166
	v_add_f16_e32 v142, v163, v142
	;; [unrolled: 5-line block ×5, first 2 shown]
	v_fma_f16 v161, v135, s7, -v169
	v_add_f16_e32 v159, v160, v159
	v_fma_f16 v160, v133, s18, v170
	v_add_f16_e32 v142, v161, v142
	v_fma_f16 v161, v146, s18, -v171
	v_add_f16_e32 v159, v160, v159
	v_fma_f16 v160, v144, s6, v172
	v_add_f16_e32 v142, v161, v142
	v_fma_f16 v161, v155, s6, -v173
	v_add_f16_e32 v159, v160, v159
	v_fma_f16 v160, v100, s19, -v253
	v_add_f16_e32 v142, v161, v142
	v_add_f16_e32 v160, v65, v160
	v_fma_f16 v161, v107, s7, -v255
	v_add_f16_e32 v160, v161, v160
	v_fma_f16 v161, v112, s6, -v254
	;; [unrolled: 2-line block ×7, first 2 shown]
	v_add_f16_e32 v54, v121, v54
	v_fma_f16 v121, v95, s19, v131
	v_add_f16_e32 v121, v66, v121
	v_fma_f16 v32, v101, s7, v32
	;; [unrolled: 2-line block ×8, first 2 shown]
	v_add_f16_e32 v32, v121, v32
	v_fma_f16 v121, v100, s16, -v235
	v_add_f16_e32 v121, v65, v121
	v_fma_f16 v126, v107, s18, -v237
	;; [unrolled: 2-line block ×8, first 2 shown]
	v_add_f16_e32 v121, v126, v121
	v_fma_f16 v126, v95, s16, v244
	v_add_f16_e32 v126, v66, v126
	v_fma_f16 v127, v101, s18, v246
	;; [unrolled: 2-line block ×3, first 2 shown]
	v_mul_f16_e32 v150, 0x39e9, v95
	v_add_f16_e32 v126, v127, v126
	v_fma_f16 v127, v113, s19, v248
	v_mul_f16_e32 v152, 0x2de8, v101
	v_add_f16_e32 v126, v127, v126
	v_fma_f16 v127, v118, s6, v249
	v_add_f16_e32 v90, v150, v90
	v_mul_f16_e32 v153, 0xb8d2, v106
	v_add_f16_e32 v126, v127, v126
	v_fma_f16 v127, v125, s5, v250
	v_add_f16_e32 v90, v66, v90
	v_add_f16_e32 v93, v152, v93
	v_mul_f16_e32 v154, 0xbbdd, v113
	v_add_f16_e32 v126, v127, v126
	v_fma_f16 v127, v133, s17, v251
	v_add_f16_e32 v90, v93, v90
	v_add_f16_e32 v93, v153, v99
	v_mul_f16_e32 v156, 0xbacd, v118
	v_add_f16_e32 v126, v127, v126
	v_fma_f16 v127, v144, s7, v252
	v_add_f16_e32 v90, v93, v90
	v_add_f16_e32 v93, v154, v104
	v_mul_f16_e32 v157, 0xb461, v125
	v_add_f16_e32 v126, v127, v126
	v_fma_f16 v127, v100, s18, -v217
	v_add_f16_e32 v90, v93, v90
	v_add_f16_e32 v93, v156, v111
	v_mul_f16_e32 v158, 0x3722, v133
	v_add_f16_e32 v127, v65, v127
	v_fma_f16 v129, v107, s19, -v219
	v_add_f16_e32 v90, v93, v90
	v_add_f16_e32 v93, v157, v116
	;; [unrolled: 1-line block ×3, first 2 shown]
	v_mul_f16_e32 v182, 0x3b76, v144
	v_add_f16_e32 v127, v129, v127
	v_fma_f16 v129, v112, s5, -v220
	v_add_f16_e32 v90, v93, v90
	v_add_f16_e32 v93, v158, v122
	;; [unrolled: 1-line block ×4, first 2 shown]
	v_fma_f16 v129, v119, s7, -v221
	v_add_f16_e32 v90, v93, v90
	v_add_f16_e32 v93, v182, v128
	;; [unrolled: 1-line block ×4, first 2 shown]
	v_fma_f16 v129, v124, s17, -v222
	v_add_f16_e32 v90, v93, v90
	v_accvgpr_read_b32 v93, a13
	v_add_f16_e32 v40, v45, v40
	v_add_f16_e32 v127, v129, v127
	v_fma_f16 v129, v135, s6, -v223
	v_sub_f16_e32 v87, v87, v93
	v_accvgpr_read_b32 v93, a14
	v_add_f16_e32 v40, v48, v40
	v_add_f16_e32 v127, v129, v127
	v_fma_f16 v129, v146, s4, -v224
	v_add_f16_e32 v87, v65, v87
	v_sub_f16_e32 v88, v88, v93
	v_add_f16_e32 v40, v49, v40
	v_add_f16_e32 v127, v129, v127
	v_fma_f16 v129, v155, s16, -v225
	v_add_f16_e32 v87, v88, v87
	v_accvgpr_read_b32 v88, a15
	v_add_f16_e32 v40, v42, v40
	v_add_f16_e32 v127, v129, v127
	v_fma_f16 v129, v95, s18, v226
	v_sub_f16_e32 v88, v92, v88
	v_add_f16_e32 v40, v43, v40
	v_add_f16_e32 v129, v66, v129
	v_fma_f16 v131, v101, s19, v228
	v_add_f16_e32 v87, v88, v87
	v_accvgpr_read_b32 v88, a16
	v_add_f16_e32 v40, v46, v40
	v_add_f16_e32 v129, v131, v129
	v_fma_f16 v131, v106, s5, v229
	v_sub_f16_e32 v88, v96, v88
	v_add_f16_e32 v40, v47, v40
	v_add_f16_e32 v129, v131, v129
	v_fma_f16 v131, v113, s7, v230
	;; [unrolled: 9-line block ×3, first 2 shown]
	v_add_f16_e32 v87, v88, v87
	v_sub_f16_e32 v88, v109, v147
	v_add_f16_e32 v40, v52, v40
	v_add_f16_e32 v129, v131, v129
	v_fma_f16 v131, v133, s4, v233
	v_add_f16_e32 v87, v88, v87
	v_sub_f16_e32 v88, v115, v148
	v_add_f16_e32 v40, v53, v40
	v_add_f16_e32 v129, v131, v129
	v_fma_f16 v131, v144, s16, v234
	v_add_f16_e32 v87, v88, v87
	v_sub_f16_e32 v88, v120, v149
	v_add_f16_e32 v38, v38, v40
	v_add_f16_e32 v129, v131, v129
	v_fma_f16 v131, v100, s6, -v200
	v_add_f16_e32 v87, v88, v87
	v_accvgpr_read_b32 v88, a4
	v_add_f16_e32 v38, v39, v38
	v_add_f16_e32 v39, v67, v65
	;; [unrolled: 1-line block ×3, first 2 shown]
	v_fma_f16 v134, v107, s17, -v201
	v_add_f16_e32 v85, v88, v85
	v_accvgpr_read_b32 v88, a5
	v_add_f16_e32 v39, v68, v39
	v_add_f16_e32 v131, v134, v131
	v_fma_f16 v134, v112, s18, -v202
	v_add_f16_e32 v85, v66, v85
	v_add_f16_e32 v86, v88, v86
	;; [unrolled: 1-line block ×4, first 2 shown]
	v_fma_f16 v134, v119, s4, -v203
	v_add_f16_e32 v85, v86, v85
	v_accvgpr_read_b32 v86, a6
	v_add_f16_e32 v39, v71, v39
	v_add_f16_e32 v131, v134, v131
	v_fma_f16 v134, v124, s7, -v204
	v_add_f16_e32 v86, v86, v89
	v_add_f16_e32 v39, v74, v39
	;; [unrolled: 1-line block ×3, first 2 shown]
	v_fma_f16 v134, v135, s19, -v205
	v_add_f16_e32 v85, v86, v85
	v_accvgpr_read_b32 v86, a7
	v_add_f16_e32 v39, v75, v39
	v_add_f16_e32 v131, v134, v131
	v_fma_f16 v134, v146, s16, -v206
	v_add_f16_e32 v86, v86, v91
	v_add_f16_e32 v39, v77, v39
	v_add_f16_e32 v131, v134, v131
	v_fma_f16 v134, v155, s5, -v207
	v_add_f16_e32 v85, v86, v85
	v_accvgpr_read_b32 v86, a8
	v_add_f16_e32 v39, v69, v39
	v_add_f16_e32 v131, v134, v131
	v_fma_f16 v134, v95, s6, v208
	v_fma_f16 v100, v100, s7, -v184
	v_fma_f16 v95, v95, s7, v192
	v_sub_f16_e32 v94, v94, v175
	v_add_f16_e32 v86, v86, v97
	v_add_f16_e32 v39, v72, v39
	v_fma_f16 v136, v101, s17, v210
	v_add_f16_e32 v100, v65, v100
	v_fma_f16 v107, v107, s16, -v185
	v_add_f16_e32 v95, v66, v95
	v_fma_f16 v101, v101, s16, v193
	v_add_f16_e32 v94, v65, v94
	v_sub_f16_e32 v98, v98, v176
	v_add_f16_e32 v85, v86, v85
	v_accvgpr_read_b32 v86, a10
	v_add_f16_e32 v39, v73, v39
	v_add_f16_e32 v134, v66, v134
	;; [unrolled: 1-line block ×3, first 2 shown]
	v_fma_f16 v107, v112, s17, -v186
	v_add_f16_e32 v95, v101, v95
	v_fma_f16 v101, v106, s17, v194
	v_add_f16_e32 v94, v98, v94
	v_sub_f16_e32 v98, v105, v177
	v_add_f16_e32 v86, v86, v102
	v_add_f16_e32 v39, v76, v39
	;; [unrolled: 1-line block ×3, first 2 shown]
	v_fma_f16 v136, v106, s18, v211
	v_add_f16_e32 v100, v107, v100
	v_fma_f16 v107, v119, s18, -v187
	v_add_f16_e32 v95, v101, v95
	v_fma_f16 v101, v113, s18, v195
	v_add_f16_e32 v94, v98, v94
	v_sub_f16_e32 v98, v110, v178
	v_add_f16_e32 v85, v86, v85
	v_accvgpr_read_b32 v86, a11
	v_add_f16_e32 v39, v78, v39
	v_add_f16_e32 v174, v66, v174
	;; [unrolled: 1-line block ×3, first 2 shown]
	v_fma_f16 v136, v113, s4, v212
	v_add_f16_e32 v100, v107, v100
	v_fma_f16 v107, v124, s5, -v188
	v_add_f16_e32 v95, v101, v95
	v_fma_f16 v101, v118, s5, v196
	v_add_f16_e32 v94, v98, v94
	v_sub_f16_e32 v98, v117, v179
	v_add_f16_e32 v86, v86, v108
	v_add_f16_e32 v39, v79, v39
	;; [unrolled: 1-line block ×3, first 2 shown]
	v_fma_f16 v174, v106, s19, -v162
	v_add_f16_e32 v134, v136, v134
	v_fma_f16 v136, v118, s7, v213
	v_add_f16_e32 v100, v107, v100
	v_fma_f16 v107, v135, s4, -v189
	v_add_f16_e32 v95, v101, v95
	v_fma_f16 v101, v125, s4, v197
	v_add_f16_e32 v94, v98, v94
	v_sub_f16_e32 v98, v123, v180
	v_add_f16_e32 v85, v86, v85
	v_accvgpr_read_b32 v86, a12
	v_add_f16_e32 v39, v80, v39
	v_add_f16_e32 v145, v174, v145
	v_fma_f16 v174, v113, s5, -v164
	v_accvgpr_read_b32 v210, a0
	v_add_f16_e32 v134, v136, v134
	v_fma_f16 v136, v125, s19, v214
	v_add_f16_e32 v100, v107, v100
	v_fma_f16 v107, v146, s6, -v190
	v_add_f16_e32 v95, v101, v95
	v_fma_f16 v101, v133, s6, v198
	v_add_f16_e32 v94, v98, v94
	v_sub_f16_e32 v98, v130, v181
	v_add_f16_e32 v86, v86, v114
	v_add_f16_e32 v39, v81, v39
	;; [unrolled: 1-line block ×3, first 2 shown]
	v_fma_f16 v174, v118, s16, -v166
	v_accvgpr_read_b32 v207, a1
	v_add_f16_e32 v134, v136, v134
	v_fma_f16 v136, v133, s16, v215
	v_add_f16_e32 v100, v107, v100
	v_fma_f16 v107, v155, s19, -v191
	v_add_f16_e32 v95, v101, v95
	v_fma_f16 v101, v144, s19, v199
	v_add_f16_e32 v94, v98, v94
	v_sub_f16_e32 v98, v141, v183
	v_add_f16_e32 v85, v86, v85
	v_add_f16_e32 v39, v64, v39
	v_mul_lo_u16_e32 v40, 17, v210
	v_add_f16_e32 v145, v174, v145
	v_fma_f16 v174, v125, s7, -v168
	v_add_f16_e32 v134, v136, v134
	v_fma_f16 v136, v144, s5, v216
	v_add_f16_e32 v100, v107, v100
	v_add_f16_e32 v95, v101, v95
	;; [unrolled: 1-line block ×3, first 2 shown]
	v_lshl_add_u32 v40, v40, 2, v207
	v_pack_b32_f16 v41, v85, v87
	v_pack_b32_f16 v38, v38, v39
	v_add_f16_e32 v145, v174, v145
	v_fma_f16 v174, v133, s18, -v170
	v_add_f16_e32 v134, v136, v134
	ds_write2_b32 v40, v38, v41 offset1:1
	v_pack_b32_f16 v38, v90, v94
	v_pack_b32_f16 v39, v95, v100
	v_add_f16_e32 v145, v174, v145
	v_fma_f16 v174, v144, s6, -v172
	ds_write2_b32 v40, v38, v39 offset0:2 offset1:3
	v_pack_b32_f16 v38, v129, v127
	v_pack_b32_f16 v39, v134, v131
	v_add_f16_e32 v145, v174, v145
	ds_write2_b32 v40, v39, v38 offset0:4 offset1:5
	v_pack_b32_f16 v32, v32, v54
	v_pack_b32_f16 v38, v126, v121
	ds_write2_b32 v40, v38, v32 offset0:6 offset1:7
	v_pack_b32_f16 v32, v145, v143
	v_pack_b32_f16 v38, v159, v142
	;; [unrolled: 3-line block ×4, first 2 shown]
	ds_write2_b32 v40, v33, v32 offset0:12 offset1:13
	v_accvgpr_read_b32 v32, a3
	v_accvgpr_read_b32 v33, a9
	s_mov_b32 s4, 0x5040100
	v_pack_b32_f16 v32, v33, v32
	v_perm_b32 v33, v82, v35, s4
	v_accvgpr_read_b32 v132, a2
	ds_write2_b32 v40, v32, v33 offset0:14 offset1:15
	v_perm_b32 v32, v84, v83, s4
	ds_write_b32 v40, v32 offset:64
.LBB0_17:
	s_or_b64 exec, exec, s[2:3]
	v_add_u32_e32 v32, 0x200, v37
	s_waitcnt lgkmcnt(0)
	s_barrier
	ds_read2_b32 v[38:39], v32 offset0:42 offset1:144
	v_add_u32_e32 v32, 0x800, v37
	ds_read2_b32 v[48:49], v32 offset0:32 offset1:117
	v_add_u32_e32 v32, 0xa00, v37
	;; [unrolled: 2-line block ×5, first 2 shown]
	ds_read2_b32 v[40:41], v37 offset1:85
	ds_read2_b32 v[44:45], v32 offset0:133 offset1:218
	ds_read_b32 v52, v37 offset:5032
	s_and_saveexec_b64 s[2:3], s[0:1]
	s_cbranch_execz .LBB0_19
; %bb.18:
	ds_read_b32 v35, v37 offset:1020
	ds_read_b32 v83, v37 offset:2108
	;; [unrolled: 1-line block ×5, first 2 shown]
	s_waitcnt lgkmcnt(4)
	v_lshrrev_b32_e32 v82, 16, v35
	s_waitcnt lgkmcnt(3)
	v_lshrrev_b32_e32 v84, 16, v83
	;; [unrolled: 2-line block ×5, first 2 shown]
.LBB0_19:
	s_or_b64 exec, exec, s[2:3]
	s_waitcnt lgkmcnt(7)
	v_lshrrev_b32_e32 v33, 16, v39
	v_mul_f16_sdwa v75, v4, v33 dst_sel:DWORD dst_unused:UNUSED_PAD src0_sel:WORD_1 src1_sel:DWORD
	s_waitcnt lgkmcnt(6)
	v_lshrrev_b32_e32 v53, 16, v48
	v_fma_f16 v75, v4, v39, v75
	v_mul_f16_sdwa v39, v4, v39 dst_sel:DWORD dst_unused:UNUSED_PAD src0_sel:WORD_1 src1_sel:DWORD
	s_waitcnt lgkmcnt(5)
	v_lshrrev_b32_e32 v54, 16, v43
	v_fma_f16 v4, v4, v33, -v39
	v_mul_f16_sdwa v33, v5, v53 dst_sel:DWORD dst_unused:UNUSED_PAD src0_sel:WORD_1 src1_sel:DWORD
	v_mul_f16_sdwa v39, v5, v48 dst_sel:DWORD dst_unused:UNUSED_PAD src0_sel:WORD_1 src1_sel:DWORD
	v_fma_f16 v33, v5, v48, v33
	v_fma_f16 v5, v5, v53, -v39
	v_mul_f16_sdwa v39, v6, v54 dst_sel:DWORD dst_unused:UNUSED_PAD src0_sel:WORD_1 src1_sel:DWORD
	s_waitcnt lgkmcnt(4)
	v_lshrrev_b32_e32 v64, 16, v50
	v_fma_f16 v39, v6, v43, v39
	v_mul_f16_sdwa v43, v6, v43 dst_sel:DWORD dst_unused:UNUSED_PAD src0_sel:WORD_1 src1_sel:DWORD
	s_waitcnt lgkmcnt(3)
	v_lshrrev_b32_e32 v66, 16, v46
	v_fma_f16 v6, v6, v54, -v43
	v_mul_f16_sdwa v43, v7, v64 dst_sel:DWORD dst_unused:UNUSED_PAD src0_sel:WORD_1 src1_sel:DWORD
	v_mul_f16_sdwa v48, v7, v50 dst_sel:DWORD dst_unused:UNUSED_PAD src0_sel:WORD_1 src1_sel:DWORD
	v_fma_f16 v43, v7, v50, v43
	v_fma_f16 v7, v7, v64, -v48
	v_mul_f16_sdwa v48, v8, v66 dst_sel:DWORD dst_unused:UNUSED_PAD src0_sel:WORD_1 src1_sel:DWORD
	v_lshrrev_b32_e32 v67, 16, v49
	v_fma_f16 v48, v8, v46, v48
	v_mul_f16_sdwa v46, v8, v46 dst_sel:DWORD dst_unused:UNUSED_PAD src0_sel:WORD_1 src1_sel:DWORD
	v_fma_f16 v8, v8, v66, -v46
	v_mul_f16_sdwa v46, v9, v67 dst_sel:DWORD dst_unused:UNUSED_PAD src0_sel:WORD_1 src1_sel:DWORD
	s_waitcnt lgkmcnt(1)
	v_lshrrev_b32_e32 v68, 16, v44
	v_fma_f16 v46, v9, v49, v46
	v_mul_f16_sdwa v49, v9, v49 dst_sel:DWORD dst_unused:UNUSED_PAD src0_sel:WORD_1 src1_sel:DWORD
	v_fma_f16 v9, v9, v67, -v49
	v_mul_f16_sdwa v49, v10, v68 dst_sel:DWORD dst_unused:UNUSED_PAD src0_sel:WORD_1 src1_sel:DWORD
	v_lshrrev_b32_e32 v69, 16, v51
	v_fma_f16 v49, v10, v44, v49
	v_mul_f16_sdwa v44, v10, v44 dst_sel:DWORD dst_unused:UNUSED_PAD src0_sel:WORD_1 src1_sel:DWORD
	v_lshrrev_b32_e32 v71, 16, v47
	v_fma_f16 v10, v10, v68, -v44
	v_mul_f16_sdwa v44, v11, v69 dst_sel:DWORD dst_unused:UNUSED_PAD src0_sel:WORD_1 src1_sel:DWORD
	v_mul_f16_sdwa v50, v11, v51 dst_sel:DWORD dst_unused:UNUSED_PAD src0_sel:WORD_1 src1_sel:DWORD
	v_fma_f16 v44, v11, v51, v44
	v_fma_f16 v11, v11, v69, -v50
	v_mul_f16_sdwa v50, v12, v71 dst_sel:DWORD dst_unused:UNUSED_PAD src0_sel:WORD_1 src1_sel:DWORD
	v_lshrrev_b32_e32 v72, 16, v42
	v_fma_f16 v50, v12, v47, v50
	v_mul_f16_sdwa v47, v12, v47 dst_sel:DWORD dst_unused:UNUSED_PAD src0_sel:WORD_1 src1_sel:DWORD
	v_fma_f16 v12, v12, v71, -v47
	v_mul_f16_sdwa v47, v13, v72 dst_sel:DWORD dst_unused:UNUSED_PAD src0_sel:WORD_1 src1_sel:DWORD
	v_lshrrev_b32_e32 v73, 16, v45
	v_fma_f16 v47, v13, v42, v47
	v_mul_f16_sdwa v42, v13, v42 dst_sel:DWORD dst_unused:UNUSED_PAD src0_sel:WORD_1 src1_sel:DWORD
	v_fma_f16 v13, v13, v72, -v42
	v_mul_f16_sdwa v42, v14, v73 dst_sel:DWORD dst_unused:UNUSED_PAD src0_sel:WORD_1 src1_sel:DWORD
	s_waitcnt lgkmcnt(0)
	v_lshrrev_b32_e32 v74, 16, v52
	v_fma_f16 v42, v14, v45, v42
	v_mul_f16_sdwa v45, v14, v45 dst_sel:DWORD dst_unused:UNUSED_PAD src0_sel:WORD_1 src1_sel:DWORD
	v_fma_f16 v14, v14, v73, -v45
	v_mul_f16_sdwa v45, v15, v74 dst_sel:DWORD dst_unused:UNUSED_PAD src0_sel:WORD_1 src1_sel:DWORD
	v_fma_f16 v45, v15, v52, v45
	v_mul_f16_sdwa v51, v15, v52 dst_sel:DWORD dst_unused:UNUSED_PAD src0_sel:WORD_1 src1_sel:DWORD
	v_add_f16_e32 v52, v33, v39
	v_fma_f16 v52, v52, -0.5, v40
	v_sub_f16_e32 v53, v4, v7
	s_mov_b32 s4, 0xbb9c
	s_movk_i32 s7, 0x3b9c
	v_fma_f16 v54, v53, s4, v52
	v_sub_f16_e32 v64, v5, v6
	s_mov_b32 s5, 0xb8b4
	v_sub_f16_e32 v66, v75, v33
	v_sub_f16_e32 v67, v43, v39
	v_fma_f16 v52, v53, s7, v52
	s_movk_i32 s16, 0x38b4
	v_fma_f16 v54, v64, s5, v54
	v_add_f16_e32 v66, v66, v67
	s_movk_i32 s6, 0x34f2
	v_fma_f16 v52, v64, s16, v52
	v_fma_f16 v15, v15, v74, -v51
	v_add_f16_e32 v51, v40, v75
	v_fma_f16 v54, v66, s6, v54
	v_fma_f16 v52, v66, s6, v52
	v_add_f16_e32 v66, v75, v43
	v_lshrrev_b32_e32 v32, 16, v40
	v_add_f16_e32 v51, v51, v33
	v_fma_f16 v40, v66, -0.5, v40
	v_add_f16_e32 v51, v51, v39
	v_fma_f16 v66, v64, s7, v40
	v_sub_f16_e32 v67, v33, v75
	v_sub_f16_e32 v68, v39, v43
	v_fma_f16 v40, v64, s4, v40
	v_add_f16_e32 v64, v5, v6
	v_add_f16_e32 v51, v51, v43
	v_fma_f16 v66, v53, s5, v66
	v_add_f16_e32 v67, v67, v68
	v_fma_f16 v40, v53, s16, v40
	v_fma_f16 v64, v64, -0.5, v32
	v_sub_f16_e32 v43, v75, v43
	v_fma_f16 v66, v67, s6, v66
	v_fma_f16 v40, v67, s6, v40
	;; [unrolled: 1-line block ×3, first 2 shown]
	v_sub_f16_e32 v33, v33, v39
	v_fma_f16 v39, v33, s16, v67
	v_sub_f16_e32 v67, v4, v5
	v_sub_f16_e32 v68, v7, v6
	v_fma_f16 v64, v43, s4, v64
	v_add_f16_e32 v53, v32, v4
	v_add_f16_e32 v67, v67, v68
	v_fma_f16 v64, v33, s5, v64
	v_add_f16_e32 v53, v53, v5
	v_fma_f16 v39, v67, s6, v39
	v_fma_f16 v64, v67, s6, v64
	v_add_f16_e32 v67, v4, v7
	v_add_f16_e32 v53, v53, v6
	v_fma_f16 v32, v67, -0.5, v32
	v_add_f16_e32 v53, v53, v7
	v_fma_f16 v67, v33, s4, v32
	v_sub_f16_e32 v4, v5, v4
	v_sub_f16_e32 v5, v6, v7
	v_add_f16_e32 v7, v46, v49
	v_fma_f16 v67, v43, s16, v67
	v_add_f16_e32 v4, v4, v5
	v_fma_f16 v6, v33, s7, v32
	v_fma_f16 v7, v7, -0.5, v41
	v_sub_f16_e32 v32, v8, v11
	v_fma_f16 v5, v4, s6, v67
	v_fma_f16 v6, v43, s5, v6
	;; [unrolled: 1-line block ×3, first 2 shown]
	v_sub_f16_e32 v43, v9, v10
	v_sub_f16_e32 v67, v48, v46
	v_sub_f16_e32 v68, v44, v49
	v_fma_f16 v7, v32, s7, v7
	v_fma_f16 v33, v43, s5, v33
	v_add_f16_e32 v67, v67, v68
	v_fma_f16 v7, v43, s16, v7
	v_fma_f16 v4, v4, s6, v6
	v_add_f16_e32 v6, v41, v48
	;; [unrolled: 3-line block ×3, first 2 shown]
	v_lshrrev_b32_e32 v65, 16, v41
	v_add_f16_e32 v6, v6, v46
	v_fma_f16 v41, v67, -0.5, v41
	v_add_f16_e32 v6, v6, v49
	v_fma_f16 v67, v43, s7, v41
	v_sub_f16_e32 v68, v46, v48
	v_sub_f16_e32 v69, v49, v44
	v_fma_f16 v41, v43, s4, v41
	v_add_f16_e32 v43, v9, v10
	v_add_f16_e32 v6, v6, v44
	v_fma_f16 v67, v32, s5, v67
	v_add_f16_e32 v68, v68, v69
	v_fma_f16 v32, v32, s16, v41
	v_fma_f16 v43, v43, -0.5, v65
	v_sub_f16_e32 v44, v48, v44
	v_fma_f16 v67, v68, s6, v67
	v_fma_f16 v32, v68, s6, v32
	;; [unrolled: 1-line block ×3, first 2 shown]
	v_sub_f16_e32 v46, v46, v49
	v_sub_f16_e32 v49, v8, v9
	;; [unrolled: 1-line block ×3, first 2 shown]
	v_fma_f16 v43, v44, s4, v43
	v_add_f16_e32 v41, v65, v8
	v_fma_f16 v48, v46, s16, v48
	v_add_f16_e32 v49, v49, v68
	;; [unrolled: 2-line block ×3, first 2 shown]
	v_fma_f16 v48, v49, s6, v48
	v_fma_f16 v43, v49, s6, v43
	v_add_f16_e32 v49, v8, v11
	v_add_f16_e32 v41, v41, v10
	v_fma_f16 v49, v49, -0.5, v65
	v_add_f16_e32 v41, v41, v11
	v_fma_f16 v65, v46, s4, v49
	v_sub_f16_e32 v8, v9, v8
	v_sub_f16_e32 v9, v10, v11
	v_fma_f16 v10, v46, s7, v49
	v_add_f16_e32 v11, v47, v42
	v_fma_f16 v65, v44, s16, v65
	v_add_f16_e32 v8, v8, v9
	v_fma_f16 v10, v44, s5, v10
	v_fma_f16 v11, v11, -0.5, v38
	v_sub_f16_e32 v44, v12, v15
	v_fma_f16 v9, v8, s6, v65
	v_fma_f16 v46, v44, s4, v11
	v_sub_f16_e32 v49, v13, v14
	v_sub_f16_e32 v65, v50, v47
	v_sub_f16_e32 v68, v45, v42
	v_fma_f16 v11, v44, s7, v11
	v_fma_f16 v46, v49, s5, v46
	v_add_f16_e32 v65, v65, v68
	v_fma_f16 v11, v49, s16, v11
	v_fma_f16 v8, v8, s6, v10
	v_add_f16_e32 v10, v38, v50
	;; [unrolled: 3-line block ×3, first 2 shown]
	v_lshrrev_b32_e32 v70, 16, v38
	v_add_f16_e32 v10, v10, v47
	v_fma_f16 v38, v65, -0.5, v38
	v_add_f16_e32 v10, v10, v42
	v_fma_f16 v65, v49, s7, v38
	v_fma_f16 v38, v49, s4, v38
	v_add_f16_e32 v49, v13, v14
	v_add_f16_e32 v10, v10, v45
	v_sub_f16_e32 v68, v47, v50
	v_sub_f16_e32 v69, v42, v45
	v_fma_f16 v49, v49, -0.5, v70
	v_sub_f16_e32 v45, v50, v45
	v_fma_f16 v65, v44, s5, v65
	v_add_f16_e32 v68, v68, v69
	v_fma_f16 v38, v44, s16, v38
	v_fma_f16 v50, v45, s7, v49
	v_sub_f16_e32 v42, v47, v42
	v_fma_f16 v65, v68, s6, v65
	v_fma_f16 v38, v68, s6, v38
	;; [unrolled: 1-line block ×3, first 2 shown]
	v_sub_f16_e32 v50, v12, v13
	v_sub_f16_e32 v68, v15, v14
	v_fma_f16 v49, v45, s4, v49
	v_add_f16_e32 v50, v50, v68
	v_fma_f16 v49, v42, s5, v49
	v_add_f16_e32 v44, v70, v12
	v_fma_f16 v47, v50, s6, v47
	v_fma_f16 v49, v50, s6, v49
	v_add_f16_e32 v50, v12, v15
	v_add_f16_e32 v44, v44, v13
	v_fma_f16 v50, v50, -0.5, v70
	v_add_f16_e32 v44, v44, v14
	v_fma_f16 v68, v42, s4, v50
	v_sub_f16_e32 v12, v13, v12
	v_sub_f16_e32 v13, v14, v15
	v_fma_f16 v14, v42, s7, v50
	v_pack_b32_f16 v5, v66, v5
	v_pack_b32_f16 v4, v40, v4
	v_fma_f16 v68, v45, s16, v68
	v_add_f16_e32 v12, v12, v13
	v_fma_f16 v14, v45, s5, v14
	s_barrier
	ds_write2_b32 v61, v5, v4 offset0:34 offset1:51
	v_pack_b32_f16 v4, v52, v64
	v_add_f16_e32 v44, v44, v15
	v_fma_f16 v13, v12, s6, v68
	v_fma_f16 v12, v12, s6, v14
	v_pack_b32_f16 v14, v51, v53
	v_pack_b32_f16 v15, v54, v39
	ds_write_b32 v61, v4 offset:272
	v_pack_b32_f16 v4, v6, v41
	v_pack_b32_f16 v5, v33, v48
	ds_write2_b32 v61, v14, v15 offset1:17
	ds_write2_b32 v62, v4, v5 offset1:17
	v_pack_b32_f16 v4, v67, v9
	v_pack_b32_f16 v5, v32, v8
	ds_write2_b32 v62, v4, v5 offset0:34 offset1:51
	v_pack_b32_f16 v4, v7, v43
	ds_write_b32 v62, v4 offset:272
	v_pack_b32_f16 v4, v10, v44
	v_pack_b32_f16 v5, v46, v47
	ds_write2_b32 v63, v4, v5 offset1:17
	v_pack_b32_f16 v4, v65, v13
	v_pack_b32_f16 v5, v38, v12
	ds_write2_b32 v63, v4, v5 offset0:34 offset1:51
	v_pack_b32_f16 v4, v11, v49
	ds_write_b32 v63, v4 offset:272
	s_and_saveexec_b64 s[2:3], s[0:1]
	s_cbranch_execz .LBB0_21
; %bb.20:
	v_mul_f16_sdwa v6, v1, v56 dst_sel:DWORD dst_unused:UNUSED_PAD src0_sel:WORD_1 src1_sel:DWORD
	v_mul_f16_sdwa v10, v1, v59 dst_sel:DWORD dst_unused:UNUSED_PAD src0_sel:WORD_1 src1_sel:DWORD
	;; [unrolled: 1-line block ×4, first 2 shown]
	v_fma_f16 v6, v1, v59, -v6
	v_mul_f16_sdwa v7, v0, v83 dst_sel:DWORD dst_unused:UNUSED_PAD src0_sel:WORD_1 src1_sel:DWORD
	v_fma_f16 v1, v1, v56, v10
	v_mul_f16_sdwa v10, v2, v60 dst_sel:DWORD dst_unused:UNUSED_PAD src0_sel:WORD_1 src1_sel:DWORD
	v_fma_f16 v4, v3, v58, -v4
	v_fma_f16 v5, v2, v60, -v5
	;; [unrolled: 1-line block ×3, first 2 shown]
	v_fma_f16 v2, v2, v57, v10
	v_mul_f16_sdwa v10, v3, v58 dst_sel:DWORD dst_unused:UNUSED_PAD src0_sel:WORD_1 src1_sel:DWORD
	v_mul_f16_sdwa v9, v0, v84 dst_sel:DWORD dst_unused:UNUSED_PAD src0_sel:WORD_1 src1_sel:DWORD
	v_fma_f16 v3, v3, v55, v10
	v_sub_f16_e32 v10, v6, v7
	v_sub_f16_e32 v11, v5, v4
	v_add_f16_e32 v12, v7, v4
	v_fma_f16 v0, v0, v83, v9
	v_add_f16_e32 v10, v10, v11
	v_sub_f16_e32 v11, v1, v2
	v_fma_f16 v12, v12, -0.5, v82
	v_fma_f16 v13, v11, s7, v12
	v_sub_f16_e32 v14, v0, v3
	v_fma_f16 v12, v11, s4, v12
	v_fma_f16 v13, v14, s5, v13
	;; [unrolled: 1-line block ×5, first 2 shown]
	v_sub_f16_e32 v12, v7, v6
	v_sub_f16_e32 v15, v4, v5
	v_add_f16_e32 v12, v12, v15
	v_add_f16_e32 v15, v6, v5
	v_add_f16_e32 v8, v7, v82
	v_fma_f16 v15, v15, -0.5, v82
	v_add_f16_e32 v8, v6, v8
	v_fma_f16 v32, v14, s4, v15
	v_fma_f16 v14, v14, s7, v15
	v_add_f16_e32 v8, v5, v8
	v_add_f16_e32 v9, v0, v35
	v_fma_f16 v32, v11, s5, v32
	v_fma_f16 v11, v11, s16, v14
	v_add_f16_e32 v8, v4, v8
	v_add_f16_e32 v9, v1, v9
	v_fma_f16 v32, v12, s6, v32
	v_fma_f16 v11, v12, s6, v11
	v_sub_f16_e32 v12, v1, v0
	v_sub_f16_e32 v4, v7, v4
	v_add_f16_e32 v7, v0, v3
	v_sub_f16_e32 v0, v0, v1
	v_add_f16_e32 v1, v1, v2
	v_add_f16_e32 v9, v2, v9
	v_fma_f16 v1, v1, -0.5, v35
	v_add_f16_e32 v9, v3, v9
	v_sub_f16_e32 v14, v2, v3
	v_fma_f16 v7, v7, -0.5, v35
	v_sub_f16_e32 v5, v6, v5
	v_sub_f16_e32 v3, v3, v2
	v_fma_f16 v2, v4, s7, v1
	v_fma_f16 v1, v4, s4, v1
	;; [unrolled: 1-line block ×4, first 2 shown]
	v_add_f16_e32 v0, v0, v3
	v_fma_f16 v2, v5, s16, v2
	v_fma_f16 v1, v5, s5, v1
	v_add_f16_e32 v12, v12, v14
	v_fma_f16 v6, v4, s16, v6
	v_fma_f16 v7, v4, s5, v7
	;; [unrolled: 1-line block ×4, first 2 shown]
	v_lshl_add_u32 v1, v132, 2, v207
	v_fma_f16 v6, v12, s6, v6
	v_fma_f16 v7, v12, s6, v7
	v_pack_b32_f16 v3, v9, v8
	v_pack_b32_f16 v0, v0, v11
	v_add_u32_e32 v4, 0x1200, v1
	ds_write2_b32 v4, v3, v0 offset0:123 offset1:140
	v_pack_b32_f16 v0, v7, v10
	v_pack_b32_f16 v3, v6, v13
	v_add_u32_e32 v4, 0x1400, v1
	ds_write2_b32 v4, v0, v3 offset0:29 offset1:46
	v_pack_b32_f16 v0, v2, v32
	ds_write_b32 v1, v0 offset:5372
.LBB0_21:
	s_or_b64 exec, exec, s[2:3]
	s_waitcnt lgkmcnt(0)
	s_barrier
	ds_read2_b32 v[0:1], v37 offset1:85
	ds_read_b32 v15, v37 offset:680
	v_add_u32_e32 v2, 0x200, v37
	ds_read2_b32 v[2:3], v2 offset0:127 offset1:212
	ds_read_b32 v33, v37 offset:5100
	v_add_u32_e32 v4, 0x400, v37
	s_waitcnt lgkmcnt(3)
	v_lshrrev_b32_e32 v32, 16, v1
	v_mul_f16_sdwa v50, v16, v32 dst_sel:DWORD dst_unused:UNUSED_PAD src0_sel:WORD_1 src1_sel:DWORD
	s_waitcnt lgkmcnt(2)
	v_lshrrev_b32_e32 v35, 16, v15
	v_fma_f16 v50, v16, v1, v50
	v_mul_f16_sdwa v1, v16, v1 dst_sel:DWORD dst_unused:UNUSED_PAD src0_sel:WORD_1 src1_sel:DWORD
	ds_read2_b32 v[4:5], v4 offset0:169 offset1:254
	v_fma_f16 v1, v16, v32, -v1
	v_mul_f16_sdwa v16, v17, v35 dst_sel:DWORD dst_unused:UNUSED_PAD src0_sel:WORD_1 src1_sel:DWORD
	s_waitcnt lgkmcnt(2)
	v_lshrrev_b32_e32 v38, 16, v2
	v_fma_f16 v16, v17, v15, v16
	v_mul_f16_sdwa v15, v17, v15 dst_sel:DWORD dst_unused:UNUSED_PAD src0_sel:WORD_1 src1_sel:DWORD
	v_fma_f16 v15, v17, v35, -v15
	v_mul_f16_sdwa v17, v18, v38 dst_sel:DWORD dst_unused:UNUSED_PAD src0_sel:WORD_1 src1_sel:DWORD
	v_lshrrev_b32_e32 v39, 16, v3
	v_add_u32_e32 v6, 0x800, v37
	v_fma_f16 v17, v18, v2, v17
	v_mul_f16_sdwa v2, v18, v2 dst_sel:DWORD dst_unused:UNUSED_PAD src0_sel:WORD_1 src1_sel:DWORD
	ds_read2_b32 v[6:7], v6 offset0:83 offset1:168
	v_fma_f16 v2, v18, v38, -v2
	v_mul_f16_sdwa v18, v19, v39 dst_sel:DWORD dst_unused:UNUSED_PAD src0_sel:WORD_1 src1_sel:DWORD
	s_waitcnt lgkmcnt(1)
	v_lshrrev_b32_e32 v40, 16, v4
	v_fma_f16 v18, v19, v3, v18
	v_mul_f16_sdwa v3, v19, v3 dst_sel:DWORD dst_unused:UNUSED_PAD src0_sel:WORD_1 src1_sel:DWORD
	v_fma_f16 v3, v19, v39, -v3
	v_mul_f16_sdwa v19, v20, v40 dst_sel:DWORD dst_unused:UNUSED_PAD src0_sel:WORD_1 src1_sel:DWORD
	v_lshrrev_b32_e32 v41, 16, v5
	v_add_u32_e32 v8, 0xa00, v37
	v_fma_f16 v19, v20, v4, v19
	v_mul_f16_sdwa v4, v20, v4 dst_sel:DWORD dst_unused:UNUSED_PAD src0_sel:WORD_1 src1_sel:DWORD
	ds_read2_b32 v[8:9], v8 offset0:125 offset1:210
	v_fma_f16 v4, v20, v40, -v4
	v_mul_f16_sdwa v20, v21, v41 dst_sel:DWORD dst_unused:UNUSED_PAD src0_sel:WORD_1 src1_sel:DWORD
	s_waitcnt lgkmcnt(1)
	v_lshrrev_b32_e32 v42, 16, v6
	v_fma_f16 v20, v21, v5, v20
	v_mul_f16_sdwa v5, v21, v5 dst_sel:DWORD dst_unused:UNUSED_PAD src0_sel:WORD_1 src1_sel:DWORD
	v_fma_f16 v5, v21, v41, -v5
	v_mul_f16_sdwa v21, v22, v42 dst_sel:DWORD dst_unused:UNUSED_PAD src0_sel:WORD_1 src1_sel:DWORD
	v_lshrrev_b32_e32 v43, 16, v7
	v_add_u32_e32 v10, 0xc00, v37
	v_fma_f16 v21, v22, v6, v21
	v_mul_f16_sdwa v6, v22, v6 dst_sel:DWORD dst_unused:UNUSED_PAD src0_sel:WORD_1 src1_sel:DWORD
	ds_read2_b32 v[10:11], v10 offset0:167 offset1:252
	v_fma_f16 v6, v22, v42, -v6
	v_mul_f16_sdwa v22, v23, v43 dst_sel:DWORD dst_unused:UNUSED_PAD src0_sel:WORD_1 src1_sel:DWORD
	s_waitcnt lgkmcnt(1)
	v_lshrrev_b32_e32 v44, 16, v8
	v_fma_f16 v22, v23, v7, v22
	v_mul_f16_sdwa v7, v23, v7 dst_sel:DWORD dst_unused:UNUSED_PAD src0_sel:WORD_1 src1_sel:DWORD
	v_fma_f16 v7, v23, v43, -v7
	v_mul_f16_sdwa v23, v24, v44 dst_sel:DWORD dst_unused:UNUSED_PAD src0_sel:WORD_1 src1_sel:DWORD
	v_add_u32_e32 v12, 0x1000, v37
	v_lshrrev_b32_e32 v37, 16, v9
	v_fma_f16 v23, v24, v8, v23
	v_mul_f16_sdwa v8, v24, v8 dst_sel:DWORD dst_unused:UNUSED_PAD src0_sel:WORD_1 src1_sel:DWORD
	ds_read2_b32 v[12:13], v12 offset0:81 offset1:166
	v_fma_f16 v8, v24, v44, -v8
	v_mul_f16_sdwa v24, v25, v37 dst_sel:DWORD dst_unused:UNUSED_PAD src0_sel:WORD_1 src1_sel:DWORD
	s_waitcnt lgkmcnt(1)
	v_lshrrev_b32_e32 v45, 16, v10
	v_fma_f16 v24, v25, v9, v24
	v_mul_f16_sdwa v9, v25, v9 dst_sel:DWORD dst_unused:UNUSED_PAD src0_sel:WORD_1 src1_sel:DWORD
	v_fma_f16 v9, v25, v37, -v9
	v_mul_f16_sdwa v25, v26, v45 dst_sel:DWORD dst_unused:UNUSED_PAD src0_sel:WORD_1 src1_sel:DWORD
	v_lshrrev_b32_e32 v46, 16, v11
	v_fma_f16 v25, v26, v10, v25
	v_mul_f16_sdwa v10, v26, v10 dst_sel:DWORD dst_unused:UNUSED_PAD src0_sel:WORD_1 src1_sel:DWORD
	v_fma_f16 v10, v26, v45, -v10
	v_mul_f16_sdwa v26, v27, v46 dst_sel:DWORD dst_unused:UNUSED_PAD src0_sel:WORD_1 src1_sel:DWORD
	s_waitcnt lgkmcnt(0)
	v_lshrrev_b32_e32 v47, 16, v12
	v_fma_f16 v26, v27, v11, v26
	v_mul_f16_sdwa v11, v27, v11 dst_sel:DWORD dst_unused:UNUSED_PAD src0_sel:WORD_1 src1_sel:DWORD
	v_fma_f16 v11, v27, v46, -v11
	v_mul_f16_sdwa v27, v28, v47 dst_sel:DWORD dst_unused:UNUSED_PAD src0_sel:WORD_1 src1_sel:DWORD
	v_lshrrev_b32_e32 v48, 16, v13
	v_fma_f16 v27, v28, v12, v27
	v_mul_f16_sdwa v12, v28, v12 dst_sel:DWORD dst_unused:UNUSED_PAD src0_sel:WORD_1 src1_sel:DWORD
	v_fma_f16 v12, v28, v47, -v12
	v_mul_f16_sdwa v28, v29, v48 dst_sel:DWORD dst_unused:UNUSED_PAD src0_sel:WORD_1 src1_sel:DWORD
	v_fma_f16 v28, v29, v13, v28
	v_mul_f16_sdwa v13, v29, v13 dst_sel:DWORD dst_unused:UNUSED_PAD src0_sel:WORD_1 src1_sel:DWORD
	v_lshrrev_b32_e32 v49, 16, v33
	v_fma_f16 v13, v29, v48, -v13
	v_lshrrev_b32_e32 v14, 16, v0
	v_mul_f16_sdwa v29, v30, v49 dst_sel:DWORD dst_unused:UNUSED_PAD src0_sel:WORD_1 src1_sel:DWORD
	v_mul_f16_sdwa v32, v30, v33 dst_sel:DWORD dst_unused:UNUSED_PAD src0_sel:WORD_1 src1_sel:DWORD
	v_sub_f16_e32 v22, v0, v22
	v_sub_f16_e32 v11, v3, v11
	;; [unrolled: 1-line block ×4, first 2 shown]
	v_fma_f16 v29, v30, v33, v29
	v_fma_f16 v30, v30, v49, -v32
	v_sub_f16_e32 v7, v14, v7
	v_sub_f16_e32 v26, v18, v26
	v_fma_f16 v3, v3, 2.0, -v11
	v_sub_f16_e32 v9, v15, v9
	v_sub_f16_e32 v28, v20, v28
	v_fma_f16 v5, v5, 2.0, -v13
	v_add_f16_e32 v11, v22, v11
	v_add_f16_e32 v13, v24, v13
	v_fma_f16 v0, v0, 2.0, -v22
	v_fma_f16 v18, v18, 2.0, -v26
	v_fma_f16 v16, v16, 2.0, -v24
	v_fma_f16 v20, v20, 2.0, -v28
	v_sub_f16_e32 v23, v50, v23
	v_sub_f16_e32 v12, v4, v12
	;; [unrolled: 1-line block ×5, first 2 shown]
	v_fma_f16 v22, v22, 2.0, -v11
	v_sub_f16_e32 v28, v9, v28
	v_fma_f16 v24, v24, 2.0, -v13
	s_mov_b32 s0, 0xb9a8
	v_fma_f16 v14, v14, 2.0, -v7
	v_fma_f16 v15, v15, 2.0, -v9
	v_sub_f16_e32 v8, v1, v8
	v_sub_f16_e32 v27, v19, v27
	v_fma_f16 v4, v4, 2.0, -v12
	v_sub_f16_e32 v10, v2, v10
	v_sub_f16_e32 v29, v21, v29
	v_fma_f16 v6, v6, 2.0, -v30
	v_fma_f16 v7, v7, 2.0, -v26
	;; [unrolled: 1-line block ×3, first 2 shown]
	v_add_f16_e32 v12, v23, v12
	v_add_f16_e32 v30, v25, v30
	v_fma_f16 v33, v24, s0, v22
	s_movk_i32 s1, 0x39a8
	v_fma_f16 v32, v50, 2.0, -v23
	v_fma_f16 v19, v19, 2.0, -v27
	;; [unrolled: 1-line block ×4, first 2 shown]
	v_sub_f16_e32 v27, v8, v27
	v_fma_f16 v23, v23, 2.0, -v12
	v_sub_f16_e32 v29, v10, v29
	v_fma_f16 v25, v25, 2.0, -v30
	v_fma_f16 v35, v9, s0, v7
	v_fma_f16 v9, v9, s1, v33
	;; [unrolled: 1-line block ×3, first 2 shown]
	v_fma_f16 v1, v1, 2.0, -v8
	v_fma_f16 v2, v2, 2.0, -v10
	;; [unrolled: 1-line block ×4, first 2 shown]
	v_fma_f16 v24, v24, s0, v35
	v_fma_f16 v35, v28, s1, v26
	;; [unrolled: 1-line block ×4, first 2 shown]
	v_sub_f16_e32 v18, v0, v18
	v_sub_f16_e32 v5, v15, v5
	v_sub_f16_e32 v19, v32, v19
	v_sub_f16_e32 v6, v2, v6
	v_fma_f16 v13, v13, s0, v35
	v_fma_f16 v35, v10, s0, v8
	;; [unrolled: 1-line block ×3, first 2 shown]
	v_sub_f16_e32 v3, v14, v3
	v_sub_f16_e32 v20, v16, v20
	v_fma_f16 v15, v15, 2.0, -v5
	v_sub_f16_e32 v4, v1, v4
	v_sub_f16_e32 v21, v17, v21
	v_fma_f16 v2, v2, 2.0, -v6
	v_fma_f16 v22, v22, 2.0, -v9
	v_add_f16_e32 v5, v18, v5
	v_fma_f16 v25, v25, s0, v35
	v_fma_f16 v23, v23, 2.0, -v10
	v_add_f16_e32 v6, v19, v6
	v_fma_f16 v33, v30, s1, v12
	s_mov_b32 s2, 0xbb64
	v_fma_f16 v0, v0, 2.0, -v18
	v_fma_f16 v16, v16, 2.0, -v20
	;; [unrolled: 1-line block ×5, first 2 shown]
	v_sub_f16_e32 v20, v3, v20
	v_fma_f16 v18, v18, 2.0, -v5
	v_fma_f16 v8, v8, 2.0, -v25
	v_sub_f16_e32 v21, v4, v21
	v_fma_f16 v19, v19, 2.0, -v6
	v_fma_f16 v35, v29, s1, v27
	v_fma_f16 v29, v29, s1, v33
	;; [unrolled: 1-line block ×3, first 2 shown]
	s_movk_i32 s3, 0x361f
	v_fma_f16 v14, v14, 2.0, -v3
	v_fma_f16 v1, v1, 2.0, -v4
	;; [unrolled: 1-line block ×5, first 2 shown]
	v_fma_f16 v30, v30, s0, v35
	v_fma_f16 v12, v12, 2.0, -v29
	v_fma_f16 v35, v8, s2, v7
	v_fma_f16 v8, v8, s3, v33
	s_mov_b32 s4, 0xb61f
	v_fma_f16 v33, v19, s0, v18
	v_sub_f16_e32 v16, v0, v16
	v_sub_f16_e32 v15, v14, v15
	v_fma_f16 v26, v26, 2.0, -v13
	v_sub_f16_e32 v17, v32, v17
	v_sub_f16_e32 v2, v1, v2
	v_fma_f16 v27, v27, 2.0, -v30
	v_fma_f16 v23, v23, s4, v35
	v_fma_f16 v35, v4, s0, v3
	;; [unrolled: 1-line block ×4, first 2 shown]
	s_movk_i32 s5, 0x3b64
	v_fma_f16 v0, v0, 2.0, -v16
	v_fma_f16 v14, v14, 2.0, -v15
	v_fma_f16 v32, v32, 2.0, -v17
	v_fma_f16 v1, v1, 2.0, -v2
	v_fma_f16 v19, v19, s0, v35
	v_fma_f16 v35, v27, s4, v26
	;; [unrolled: 1-line block ×3, first 2 shown]
	v_add_f16_e32 v33, v16, v2
	v_sub_f16_e32 v32, v0, v32
	v_sub_f16_e32 v1, v14, v1
	v_fma_f16 v2, v16, 2.0, -v33
	v_fma_f16 v16, v10, s3, v9
	v_fma_f16 v0, v0, 2.0, -v32
	v_fma_f16 v14, v14, 2.0, -v1
	v_fma_f16 v12, v12, s2, v35
	v_fma_f16 v35, v25, s3, v24
	;; [unrolled: 1-line block ×3, first 2 shown]
	v_fma_f16 v22, v22, 2.0, -v8
	v_fma_f16 v7, v7, 2.0, -v23
	;; [unrolled: 1-line block ×4, first 2 shown]
	v_sub_f16_e32 v17, v15, v17
	v_fma_f16 v10, v10, s2, v35
	v_fma_f16 v25, v9, 2.0, -v16
	v_fma_f16 v9, v6, s1, v5
	v_fma_f16 v35, v21, s1, v20
	v_pack_b32_f16 v0, v0, v14
	v_fma_f16 v11, v11, 2.0, -v27
	v_fma_f16 v26, v26, 2.0, -v12
	;; [unrolled: 1-line block ×3, first 2 shown]
	v_fma_f16 v21, v21, s1, v9
	v_fma_f16 v6, v6, s0, v35
	;; [unrolled: 1-line block ×4, first 2 shown]
	ds_write_b32 v31, v0
	v_pack_b32_f16 v0, v22, v7
	v_pack_b32_f16 v3, v18, v3
	v_fma_f16 v24, v24, 2.0, -v10
	v_fma_f16 v5, v5, 2.0, -v21
	;; [unrolled: 1-line block ×3, first 2 shown]
	v_fma_f16 v30, v30, s3, v9
	v_fma_f16 v29, v29, s4, v35
	ds_write2_b32 v31, v0, v3 offset0:85 offset1:170
	v_pack_b32_f16 v0, v11, v26
	v_pack_b32_f16 v2, v2, v15
	v_add_u32_e32 v9, 0x200, v31
	v_fma_f16 v28, v28, 2.0, -v30
	v_fma_f16 v13, v13, 2.0, -v29
	ds_write2_b32 v9, v0, v2 offset0:127 offset1:212
	v_pack_b32_f16 v0, v25, v24
	v_pack_b32_f16 v2, v5, v20
	v_add_u32_e32 v3, 0x400, v31
	ds_write2_b32 v3, v0, v2 offset0:169 offset1:254
	v_pack_b32_f16 v0, v28, v13
	v_pack_b32_f16 v1, v32, v1
	v_add_u32_e32 v2, 0x800, v31
	;; [unrolled: 4-line block ×5, first 2 shown]
	s_movk_i32 s18, 0x1000
	ds_write2_b32 v6, v0, v1 offset0:81 offset1:166
	v_pack_b32_f16 v0, v30, v29
	ds_write_b32 v31, v0 offset:5100
	s_waitcnt lgkmcnt(0)
	s_barrier
	s_and_b64 exec, exec, vcc
	s_cbranch_execz .LBB0_23
; %bb.22:
	global_load_dword v5, v34, s[12:13]
	ds_read_b32 v18, v31
	v_mad_u64_u32 v[10:11], s[0:1], s10, v36, 0
	v_mad_u64_u32 v[12:13], s[0:1], s8, v210, 0
	v_mov_b32_e32 v14, v11
	s_waitcnt lgkmcnt(0)
	v_lshrrev_b32_e32 v11, 16, v18
	v_mov_b32_e32 v16, v13
	v_mad_u64_u32 v[14:15], s[0:1], s11, v36, v[14:15]
	s_mov_b32 s6, 0x18181818
	s_mov_b32 s7, 0x3f481818
	v_mad_u64_u32 v[16:17], s[0:1], s9, v210, v[16:17]
	s_movk_i32 s16, 0x1ff
	v_mov_b32_e32 v1, s15
	s_movk_i32 s15, 0xffe
	v_mov_b32_e32 v4, 0x7c00
	s_movk_i32 s10, 0x40f
	v_mov_b32_e32 v0, s14
	s_mov_b32 s14, 0x8000
	s_mov_b32 s17, 0xffff
	s_mul_i32 s11, s9, 0x140
	v_mov_b32_e32 v35, 0
	s_waitcnt vmcnt(0)
	v_mul_f16_sdwa v13, v11, v5 dst_sel:DWORD dst_unused:UNUSED_PAD src0_sel:DWORD src1_sel:WORD_1
	v_mul_f16_sdwa v15, v18, v5 dst_sel:DWORD dst_unused:UNUSED_PAD src0_sel:DWORD src1_sel:WORD_1
	v_fma_f16 v13, v18, v5, v13
	v_fma_f16 v5, v5, v11, -v15
	v_cvt_f32_f16_e32 v15, v13
	v_cvt_f32_f16_e32 v5, v5
	v_mov_b32_e32 v11, v14
	v_mov_b32_e32 v13, v16
	v_cvt_f64_f32_e32 v[14:15], v15
	v_cvt_f64_f32_e32 v[16:17], v5
	v_mul_f64 v[14:15], v[14:15], s[6:7]
	v_mul_f64 v[16:17], v[16:17], s[6:7]
	v_and_or_b32 v5, v15, s16, v14
	v_and_or_b32 v16, v17, s16, v16
	v_cmp_ne_u32_e32 vcc, 0, v5
	v_lshrrev_b32_e32 v14, 8, v15
	v_bfe_u32 v18, v15, 20, 11
	v_cndmask_b32_e64 v5, 0, 1, vcc
	v_cmp_ne_u32_e32 vcc, 0, v16
	v_lshrrev_b32_e32 v19, 8, v17
	v_bfe_u32 v20, v17, 20, 11
	v_sub_u32_e32 v21, 0x3f1, v18
	v_cndmask_b32_e64 v16, 0, 1, vcc
	v_and_or_b32 v5, v14, s15, v5
	v_sub_u32_e32 v22, 0x3f1, v20
	v_med3_i32 v14, v21, 0, 13
	v_and_or_b32 v16, v19, s15, v16
	v_or_b32_e32 v21, 0x1000, v5
	v_add_u32_e32 v18, 0xfffffc10, v18
	v_med3_i32 v19, v22, 0, 13
	v_cmp_ne_u32_e32 vcc, 0, v5
	v_or_b32_e32 v23, 0x1000, v16
	v_lshrrev_b32_e32 v25, v14, v21
	v_add_u32_e32 v20, 0xfffffc10, v20
	v_lshl_or_b32 v22, v18, 12, v5
	v_cndmask_b32_e64 v5, 0, 1, vcc
	v_cmp_ne_u32_e32 vcc, 0, v16
	v_lshrrev_b32_e32 v26, v19, v23
	v_lshlrev_b32_e32 v14, v14, v25
	v_lshl_or_b32 v24, v20, 12, v16
	v_cndmask_b32_e64 v16, 0, 1, vcc
	v_lshlrev_b32_e32 v19, v19, v26
	v_cmp_ne_u32_e32 vcc, v14, v21
	v_lshl_or_b32 v5, v5, 9, v4
	v_lshl_or_b32 v16, v16, 9, v4
	v_cndmask_b32_e64 v14, 0, 1, vcc
	v_cmp_ne_u32_e32 vcc, v19, v23
	v_or_b32_e32 v14, v25, v14
	v_and_b32_sdwa v15, v15, s14 dst_sel:DWORD dst_unused:UNUSED_PAD src0_sel:WORD_1 src1_sel:DWORD
	v_cndmask_b32_e64 v19, 0, 1, vcc
	v_cmp_gt_i32_e32 vcc, 1, v18
	v_or_b32_e32 v19, v26, v19
	v_lshrrev_b32_e32 v17, 16, v17
	v_cndmask_b32_e32 v14, v22, v14, vcc
	v_cmp_gt_i32_e32 vcc, 1, v20
	v_and_b32_e32 v21, 7, v14
	v_cmp_eq_u32_e64 s[0:1], 3, v21
	v_cndmask_b32_e32 v19, v24, v19, vcc
	v_cmp_lt_i32_e32 vcc, 5, v21
	v_lshrrev_b32_e32 v14, 2, v14
	v_and_b32_e32 v22, 7, v19
	s_or_b64 vcc, s[0:1], vcc
	v_cmp_lt_i32_e64 s[2:3], 5, v22
	v_cmp_eq_u32_e64 s[4:5], 3, v22
	v_addc_co_u32_e32 v14, vcc, 0, v14, vcc
	v_lshrrev_b32_e32 v19, 2, v19
	s_or_b64 vcc, s[4:5], s[2:3]
	v_addc_co_u32_e32 v19, vcc, 0, v19, vcc
	v_cmp_gt_i32_e32 vcc, 31, v18
	v_lshl_add_u64 v[0:1], v[10:11], 2, v[0:1]
	v_lshl_add_u64 v[10:11], v[12:13], 2, v[0:1]
	v_cndmask_b32_e32 v14, v4, v14, vcc
	v_cmp_gt_i32_e32 vcc, 31, v20
	ds_read2_b32 v[12:13], v31 offset0:80 offset1:160
	s_nop 0
	v_cndmask_b32_e32 v19, v4, v19, vcc
	v_cmp_eq_u32_e32 vcc, s10, v18
	s_nop 1
	v_cndmask_b32_e32 v5, v14, v5, vcc
	v_cmp_eq_u32_e32 vcc, s10, v20
	v_bitop3_b32 v5, v15, s17, v5 bitop3:0xc8
	s_waitcnt lgkmcnt(0)
	v_lshrrev_b32_e32 v15, 16, v12
	v_cndmask_b32_e32 v14, v19, v16, vcc
	v_and_or_b32 v14, v17, s14, v14
	v_lshl_or_b32 v5, v14, 16, v5
	global_store_dword v[10:11], v5, off
	global_load_dword v14, v34, s[12:13] offset:320
	v_mov_b32_e32 v5, 0x140
	v_mad_u64_u32 v[10:11], s[0:1], s8, v5, v[10:11]
	v_add_u32_e32 v11, s11, v11
	s_waitcnt vmcnt(0)
	v_mul_f16_sdwa v16, v15, v14 dst_sel:DWORD dst_unused:UNUSED_PAD src0_sel:DWORD src1_sel:WORD_1
	v_mul_f16_sdwa v17, v12, v14 dst_sel:DWORD dst_unused:UNUSED_PAD src0_sel:DWORD src1_sel:WORD_1
	v_fma_f16 v12, v12, v14, v16
	v_fma_f16 v14, v14, v15, -v17
	v_cvt_f32_f16_e32 v12, v12
	v_cvt_f32_f16_e32 v16, v14
	v_cvt_f64_f32_e32 v[14:15], v12
	v_cvt_f64_f32_e32 v[16:17], v16
	v_mul_f64 v[14:15], v[14:15], s[6:7]
	v_mul_f64 v[16:17], v[16:17], s[6:7]
	v_and_or_b32 v12, v15, s16, v14
	v_and_or_b32 v16, v17, s16, v16
	v_cmp_ne_u32_e32 vcc, 0, v12
	v_lshrrev_b32_e32 v14, 8, v15
	v_bfe_u32 v18, v15, 20, 11
	v_cndmask_b32_e64 v12, 0, 1, vcc
	v_cmp_ne_u32_e32 vcc, 0, v16
	v_lshrrev_b32_e32 v19, 8, v17
	v_bfe_u32 v20, v17, 20, 11
	v_sub_u32_e32 v21, 0x3f1, v18
	v_cndmask_b32_e64 v16, 0, 1, vcc
	v_and_or_b32 v12, v14, s15, v12
	v_sub_u32_e32 v22, 0x3f1, v20
	v_med3_i32 v14, v21, 0, 13
	v_and_or_b32 v16, v19, s15, v16
	v_or_b32_e32 v21, 0x1000, v12
	v_add_u32_e32 v18, 0xfffffc10, v18
	v_med3_i32 v19, v22, 0, 13
	v_cmp_ne_u32_e32 vcc, 0, v12
	v_or_b32_e32 v23, 0x1000, v16
	v_lshrrev_b32_e32 v25, v14, v21
	v_add_u32_e32 v20, 0xfffffc10, v20
	v_lshl_or_b32 v22, v18, 12, v12
	v_cndmask_b32_e64 v12, 0, 1, vcc
	v_cmp_ne_u32_e32 vcc, 0, v16
	v_lshrrev_b32_e32 v26, v19, v23
	v_lshlrev_b32_e32 v14, v14, v25
	v_lshl_or_b32 v24, v20, 12, v16
	v_cndmask_b32_e64 v16, 0, 1, vcc
	v_lshlrev_b32_e32 v19, v19, v26
	v_cmp_ne_u32_e32 vcc, v14, v21
	v_lshl_or_b32 v12, v12, 9, v4
	v_lshl_or_b32 v16, v16, 9, v4
	v_cndmask_b32_e64 v14, 0, 1, vcc
	v_cmp_ne_u32_e32 vcc, v19, v23
	v_or_b32_e32 v14, v25, v14
	v_and_b32_sdwa v15, v15, s14 dst_sel:DWORD dst_unused:UNUSED_PAD src0_sel:WORD_1 src1_sel:DWORD
	v_cndmask_b32_e64 v19, 0, 1, vcc
	v_cmp_gt_i32_e32 vcc, 1, v18
	v_or_b32_e32 v19, v26, v19
	v_lshrrev_b32_e32 v17, 16, v17
	v_cndmask_b32_e32 v14, v22, v14, vcc
	v_cmp_gt_i32_e32 vcc, 1, v20
	v_and_b32_e32 v21, 7, v14
	v_cmp_eq_u32_e64 s[0:1], 3, v21
	v_cndmask_b32_e32 v19, v24, v19, vcc
	v_cmp_lt_i32_e32 vcc, 5, v21
	v_lshrrev_b32_e32 v14, 2, v14
	v_and_b32_e32 v22, 7, v19
	s_or_b64 vcc, s[0:1], vcc
	v_cmp_lt_i32_e64 s[2:3], 5, v22
	v_cmp_eq_u32_e64 s[4:5], 3, v22
	v_addc_co_u32_e32 v14, vcc, 0, v14, vcc
	v_lshrrev_b32_e32 v19, 2, v19
	s_or_b64 vcc, s[4:5], s[2:3]
	v_addc_co_u32_e32 v19, vcc, 0, v19, vcc
	v_cmp_gt_i32_e32 vcc, 31, v18
	s_nop 1
	v_cndmask_b32_e32 v14, v4, v14, vcc
	v_cmp_gt_i32_e32 vcc, 31, v20
	s_nop 1
	v_cndmask_b32_e32 v19, v4, v19, vcc
	v_cmp_eq_u32_e32 vcc, s10, v18
	s_nop 1
	v_cndmask_b32_e32 v12, v14, v12, vcc
	v_cmp_eq_u32_e32 vcc, s10, v20
	v_bitop3_b32 v12, v15, s17, v12 bitop3:0xc8
	s_nop 0
	v_cndmask_b32_e32 v14, v19, v16, vcc
	v_and_or_b32 v14, v17, s14, v14
	v_lshl_or_b32 v12, v14, 16, v12
	global_store_dword v[10:11], v12, off
	global_load_dword v12, v34, s[12:13] offset:640
	v_lshrrev_b32_e32 v14, 16, v13
	v_mad_u64_u32 v[10:11], s[0:1], s8, v5, v[10:11]
	v_add_u32_e32 v11, s11, v11
	s_waitcnt vmcnt(0)
	v_mul_f16_sdwa v15, v14, v12 dst_sel:DWORD dst_unused:UNUSED_PAD src0_sel:DWORD src1_sel:WORD_1
	v_mul_f16_sdwa v16, v13, v12 dst_sel:DWORD dst_unused:UNUSED_PAD src0_sel:DWORD src1_sel:WORD_1
	v_fma_f16 v13, v13, v12, v15
	v_fma_f16 v12, v12, v14, -v16
	v_cvt_f32_f16_e32 v13, v13
	v_cvt_f32_f16_e32 v14, v12
	v_cvt_f64_f32_e32 v[12:13], v13
	v_cvt_f64_f32_e32 v[14:15], v14
	v_mul_f64 v[12:13], v[12:13], s[6:7]
	v_mul_f64 v[14:15], v[14:15], s[6:7]
	v_and_or_b32 v12, v13, s16, v12
	v_and_or_b32 v14, v15, s16, v14
	v_cmp_ne_u32_e32 vcc, 0, v12
	v_lshrrev_b32_e32 v16, 8, v13
	v_bfe_u32 v17, v13, 20, 11
	v_cndmask_b32_e64 v12, 0, 1, vcc
	v_cmp_ne_u32_e32 vcc, 0, v14
	v_lshrrev_b32_e32 v18, 8, v15
	v_bfe_u32 v19, v15, 20, 11
	v_sub_u32_e32 v20, 0x3f1, v17
	v_cndmask_b32_e64 v14, 0, 1, vcc
	v_and_or_b32 v12, v16, s15, v12
	v_sub_u32_e32 v21, 0x3f1, v19
	v_med3_i32 v16, v20, 0, 13
	v_and_or_b32 v14, v18, s15, v14
	v_or_b32_e32 v20, 0x1000, v12
	v_add_u32_e32 v17, 0xfffffc10, v17
	v_med3_i32 v18, v21, 0, 13
	v_cmp_ne_u32_e32 vcc, 0, v12
	v_or_b32_e32 v22, 0x1000, v14
	v_lshrrev_b32_e32 v24, v16, v20
	v_add_u32_e32 v19, 0xfffffc10, v19
	v_lshl_or_b32 v21, v17, 12, v12
	v_cndmask_b32_e64 v12, 0, 1, vcc
	v_cmp_ne_u32_e32 vcc, 0, v14
	v_lshrrev_b32_e32 v25, v18, v22
	v_lshlrev_b32_e32 v16, v16, v24
	v_lshl_or_b32 v23, v19, 12, v14
	v_cndmask_b32_e64 v14, 0, 1, vcc
	v_lshlrev_b32_e32 v18, v18, v25
	v_cmp_ne_u32_e32 vcc, v16, v20
	v_lshl_or_b32 v12, v12, 9, v4
	v_lshl_or_b32 v14, v14, 9, v4
	v_cndmask_b32_e64 v16, 0, 1, vcc
	v_cmp_ne_u32_e32 vcc, v18, v22
	v_or_b32_e32 v16, v24, v16
	v_and_b32_sdwa v13, v13, s14 dst_sel:DWORD dst_unused:UNUSED_PAD src0_sel:WORD_1 src1_sel:DWORD
	v_cndmask_b32_e64 v18, 0, 1, vcc
	v_cmp_gt_i32_e32 vcc, 1, v17
	v_or_b32_e32 v18, v25, v18
	v_lshrrev_b32_e32 v15, 16, v15
	v_cndmask_b32_e32 v16, v21, v16, vcc
	v_cmp_gt_i32_e32 vcc, 1, v19
	v_and_b32_e32 v20, 7, v16
	v_cmp_eq_u32_e64 s[0:1], 3, v20
	v_cndmask_b32_e32 v18, v23, v18, vcc
	v_cmp_lt_i32_e32 vcc, 5, v20
	v_lshrrev_b32_e32 v16, 2, v16
	v_and_b32_e32 v21, 7, v18
	s_or_b64 vcc, s[0:1], vcc
	v_cmp_lt_i32_e64 s[2:3], 5, v21
	v_cmp_eq_u32_e64 s[4:5], 3, v21
	v_addc_co_u32_e32 v16, vcc, 0, v16, vcc
	v_lshrrev_b32_e32 v18, 2, v18
	s_or_b64 vcc, s[4:5], s[2:3]
	v_addc_co_u32_e32 v18, vcc, 0, v18, vcc
	v_cmp_gt_i32_e32 vcc, 31, v17
	s_nop 1
	v_cndmask_b32_e32 v16, v4, v16, vcc
	v_cmp_gt_i32_e32 vcc, 31, v19
	s_nop 1
	v_cndmask_b32_e32 v18, v4, v18, vcc
	v_cmp_eq_u32_e32 vcc, s10, v17
	s_nop 1
	v_cndmask_b32_e32 v12, v16, v12, vcc
	v_cmp_eq_u32_e32 vcc, s10, v19
	v_bitop3_b32 v12, v13, s17, v12 bitop3:0xc8
	s_nop 0
	v_cndmask_b32_e32 v14, v18, v14, vcc
	v_and_or_b32 v14, v15, s14, v14
	v_lshl_or_b32 v12, v14, 16, v12
	global_store_dword v[10:11], v12, off
	global_load_dword v14, v34, s[12:13] offset:960
	ds_read2_b32 v[12:13], v9 offset0:112 offset1:192
	v_mad_u64_u32 v[10:11], s[0:1], s8, v5, v[10:11]
	v_add_u32_e32 v11, s11, v11
	s_waitcnt lgkmcnt(0)
	v_lshrrev_b32_e32 v9, 16, v12
	s_waitcnt vmcnt(0)
	v_mul_f16_sdwa v15, v9, v14 dst_sel:DWORD dst_unused:UNUSED_PAD src0_sel:DWORD src1_sel:WORD_1
	v_mul_f16_sdwa v16, v12, v14 dst_sel:DWORD dst_unused:UNUSED_PAD src0_sel:DWORD src1_sel:WORD_1
	v_fma_f16 v12, v12, v14, v15
	v_fma_f16 v9, v14, v9, -v16
	v_cvt_f32_f16_e32 v12, v12
	v_cvt_f32_f16_e32 v9, v9
	v_cvt_f64_f32_e32 v[14:15], v12
	v_cvt_f64_f32_e32 v[16:17], v9
	v_mul_f64 v[14:15], v[14:15], s[6:7]
	v_mul_f64 v[16:17], v[16:17], s[6:7]
	v_and_or_b32 v9, v15, s16, v14
	v_and_or_b32 v16, v17, s16, v16
	v_cmp_ne_u32_e32 vcc, 0, v9
	v_lshrrev_b32_e32 v12, 8, v15
	v_bfe_u32 v14, v15, 20, 11
	v_cndmask_b32_e64 v9, 0, 1, vcc
	v_cmp_ne_u32_e32 vcc, 0, v16
	v_lshrrev_b32_e32 v18, 8, v17
	v_bfe_u32 v19, v17, 20, 11
	v_sub_u32_e32 v20, 0x3f1, v14
	v_cndmask_b32_e64 v16, 0, 1, vcc
	v_and_or_b32 v9, v12, s15, v9
	v_sub_u32_e32 v21, 0x3f1, v19
	v_med3_i32 v12, v20, 0, 13
	v_and_or_b32 v16, v18, s15, v16
	v_or_b32_e32 v20, 0x1000, v9
	v_add_u32_e32 v14, 0xfffffc10, v14
	v_med3_i32 v18, v21, 0, 13
	v_cmp_ne_u32_e32 vcc, 0, v9
	v_or_b32_e32 v22, 0x1000, v16
	v_lshrrev_b32_e32 v24, v12, v20
	v_add_u32_e32 v19, 0xfffffc10, v19
	v_lshl_or_b32 v21, v14, 12, v9
	v_cndmask_b32_e64 v9, 0, 1, vcc
	v_cmp_ne_u32_e32 vcc, 0, v16
	v_lshrrev_b32_e32 v25, v18, v22
	v_lshlrev_b32_e32 v12, v12, v24
	v_lshl_or_b32 v23, v19, 12, v16
	v_cndmask_b32_e64 v16, 0, 1, vcc
	v_lshlrev_b32_e32 v18, v18, v25
	v_cmp_ne_u32_e32 vcc, v12, v20
	v_lshl_or_b32 v9, v9, 9, v4
	v_lshl_or_b32 v16, v16, 9, v4
	v_cndmask_b32_e64 v12, 0, 1, vcc
	v_cmp_ne_u32_e32 vcc, v18, v22
	v_or_b32_e32 v12, v24, v12
	v_and_b32_sdwa v15, v15, s14 dst_sel:DWORD dst_unused:UNUSED_PAD src0_sel:WORD_1 src1_sel:DWORD
	v_cndmask_b32_e64 v18, 0, 1, vcc
	v_cmp_gt_i32_e32 vcc, 1, v14
	v_or_b32_e32 v18, v25, v18
	v_lshrrev_b32_e32 v17, 16, v17
	v_cndmask_b32_e32 v12, v21, v12, vcc
	v_cmp_gt_i32_e32 vcc, 1, v19
	v_and_b32_e32 v20, 7, v12
	v_cmp_eq_u32_e64 s[0:1], 3, v20
	v_cndmask_b32_e32 v18, v23, v18, vcc
	v_cmp_lt_i32_e32 vcc, 5, v20
	v_lshrrev_b32_e32 v12, 2, v12
	v_and_b32_e32 v21, 7, v18
	s_or_b64 vcc, s[0:1], vcc
	v_cmp_lt_i32_e64 s[2:3], 5, v21
	v_cmp_eq_u32_e64 s[4:5], 3, v21
	v_addc_co_u32_e32 v12, vcc, 0, v12, vcc
	v_lshrrev_b32_e32 v18, 2, v18
	s_or_b64 vcc, s[4:5], s[2:3]
	v_addc_co_u32_e32 v18, vcc, 0, v18, vcc
	v_cmp_gt_i32_e32 vcc, 31, v14
	s_nop 1
	v_cndmask_b32_e32 v12, v4, v12, vcc
	v_cmp_gt_i32_e32 vcc, 31, v19
	s_nop 1
	v_cndmask_b32_e32 v18, v4, v18, vcc
	v_cmp_eq_u32_e32 vcc, s10, v14
	s_nop 1
	v_cndmask_b32_e32 v9, v12, v9, vcc
	v_cmp_eq_u32_e32 vcc, s10, v19
	v_bitop3_b32 v9, v15, s17, v9 bitop3:0xc8
	s_nop 0
	v_cndmask_b32_e32 v12, v18, v16, vcc
	v_and_or_b32 v12, v17, s14, v12
	v_lshl_or_b32 v9, v12, 16, v9
	global_store_dword v[10:11], v9, off
	global_load_dword v9, v34, s[12:13] offset:1280
	v_lshrrev_b32_e32 v12, 16, v13
	v_mad_u64_u32 v[10:11], s[0:1], s8, v5, v[10:11]
	v_add_u32_e32 v11, s11, v11
	s_waitcnt vmcnt(0)
	v_mul_f16_sdwa v14, v12, v9 dst_sel:DWORD dst_unused:UNUSED_PAD src0_sel:DWORD src1_sel:WORD_1
	v_mul_f16_sdwa v15, v13, v9 dst_sel:DWORD dst_unused:UNUSED_PAD src0_sel:DWORD src1_sel:WORD_1
	v_fma_f16 v13, v13, v9, v14
	v_fma_f16 v9, v9, v12, -v15
	v_cvt_f32_f16_e32 v12, v13
	v_cvt_f32_f16_e32 v9, v9
	v_cvt_f64_f32_e32 v[12:13], v12
	v_cvt_f64_f32_e32 v[14:15], v9
	v_mul_f64 v[12:13], v[12:13], s[6:7]
	v_mul_f64 v[14:15], v[14:15], s[6:7]
	v_and_or_b32 v9, v13, s16, v12
	v_and_or_b32 v14, v15, s16, v14
	v_cmp_ne_u32_e32 vcc, 0, v9
	v_lshrrev_b32_e32 v12, 8, v13
	v_bfe_u32 v16, v13, 20, 11
	v_cndmask_b32_e64 v9, 0, 1, vcc
	v_cmp_ne_u32_e32 vcc, 0, v14
	v_lshrrev_b32_e32 v17, 8, v15
	v_bfe_u32 v18, v15, 20, 11
	v_sub_u32_e32 v19, 0x3f1, v16
	v_cndmask_b32_e64 v14, 0, 1, vcc
	v_and_or_b32 v9, v12, s15, v9
	v_sub_u32_e32 v20, 0x3f1, v18
	v_med3_i32 v12, v19, 0, 13
	v_and_or_b32 v14, v17, s15, v14
	v_or_b32_e32 v19, 0x1000, v9
	v_add_u32_e32 v16, 0xfffffc10, v16
	v_med3_i32 v17, v20, 0, 13
	v_cmp_ne_u32_e32 vcc, 0, v9
	v_or_b32_e32 v21, 0x1000, v14
	v_lshrrev_b32_e32 v23, v12, v19
	v_add_u32_e32 v18, 0xfffffc10, v18
	v_lshl_or_b32 v20, v16, 12, v9
	v_cndmask_b32_e64 v9, 0, 1, vcc
	v_cmp_ne_u32_e32 vcc, 0, v14
	v_lshrrev_b32_e32 v24, v17, v21
	v_lshlrev_b32_e32 v12, v12, v23
	v_lshl_or_b32 v22, v18, 12, v14
	v_cndmask_b32_e64 v14, 0, 1, vcc
	v_lshlrev_b32_e32 v17, v17, v24
	v_cmp_ne_u32_e32 vcc, v12, v19
	v_lshl_or_b32 v9, v9, 9, v4
	v_lshl_or_b32 v14, v14, 9, v4
	v_cndmask_b32_e64 v12, 0, 1, vcc
	v_cmp_ne_u32_e32 vcc, v17, v21
	v_or_b32_e32 v12, v23, v12
	v_and_b32_sdwa v13, v13, s14 dst_sel:DWORD dst_unused:UNUSED_PAD src0_sel:WORD_1 src1_sel:DWORD
	v_cndmask_b32_e64 v17, 0, 1, vcc
	v_cmp_gt_i32_e32 vcc, 1, v16
	v_or_b32_e32 v17, v24, v17
	v_lshrrev_b32_e32 v15, 16, v15
	v_cndmask_b32_e32 v12, v20, v12, vcc
	v_cmp_gt_i32_e32 vcc, 1, v18
	v_and_b32_e32 v19, 7, v12
	v_cmp_eq_u32_e64 s[0:1], 3, v19
	v_cndmask_b32_e32 v17, v22, v17, vcc
	v_cmp_lt_i32_e32 vcc, 5, v19
	v_lshrrev_b32_e32 v12, 2, v12
	v_and_b32_e32 v20, 7, v17
	s_or_b64 vcc, s[0:1], vcc
	v_cmp_lt_i32_e64 s[2:3], 5, v20
	v_cmp_eq_u32_e64 s[4:5], 3, v20
	v_addc_co_u32_e32 v12, vcc, 0, v12, vcc
	v_lshrrev_b32_e32 v17, 2, v17
	s_or_b64 vcc, s[4:5], s[2:3]
	v_addc_co_u32_e32 v17, vcc, 0, v17, vcc
	v_cmp_gt_i32_e32 vcc, 31, v16
	s_nop 1
	v_cndmask_b32_e32 v12, v4, v12, vcc
	v_cmp_gt_i32_e32 vcc, 31, v18
	s_nop 1
	v_cndmask_b32_e32 v17, v4, v17, vcc
	v_cmp_eq_u32_e32 vcc, s10, v16
	s_nop 1
	v_cndmask_b32_e32 v9, v12, v9, vcc
	v_cmp_eq_u32_e32 vcc, s10, v18
	v_bitop3_b32 v9, v13, s17, v9 bitop3:0xc8
	s_nop 0
	v_cndmask_b32_e32 v12, v17, v14, vcc
	v_and_or_b32 v12, v15, s14, v12
	v_lshl_or_b32 v9, v12, 16, v9
	global_store_dword v[10:11], v9, off
	global_load_dword v9, v34, s[12:13] offset:1600
	ds_read2_b32 v[12:13], v3 offset0:144 offset1:224
	v_mad_u64_u32 v[10:11], s[0:1], s8, v5, v[10:11]
	v_add_u32_e32 v11, s11, v11
	s_waitcnt lgkmcnt(0)
	v_lshrrev_b32_e32 v3, 16, v12
	s_waitcnt vmcnt(0)
	v_mul_f16_sdwa v14, v3, v9 dst_sel:DWORD dst_unused:UNUSED_PAD src0_sel:DWORD src1_sel:WORD_1
	v_mul_f16_sdwa v15, v12, v9 dst_sel:DWORD dst_unused:UNUSED_PAD src0_sel:DWORD src1_sel:WORD_1
	v_fma_f16 v12, v12, v9, v14
	v_fma_f16 v3, v9, v3, -v15
	v_cvt_f32_f16_e32 v9, v12
	v_cvt_f32_f16_e32 v3, v3
	v_cvt_f64_f32_e32 v[14:15], v9
	v_cvt_f64_f32_e32 v[16:17], v3
	v_mul_f64 v[14:15], v[14:15], s[6:7]
	v_mul_f64 v[16:17], v[16:17], s[6:7]
	v_and_or_b32 v3, v15, s16, v14
	v_lshrrev_b32_e32 v9, 8, v15
	v_bfe_u32 v12, v15, 20, 11
	v_and_b32_sdwa v14, v15, s14 dst_sel:DWORD dst_unused:UNUSED_PAD src0_sel:WORD_1 src1_sel:DWORD
	v_and_or_b32 v15, v17, s16, v16
	v_cmp_ne_u32_e32 vcc, 0, v3
	v_lshrrev_b32_e32 v16, 8, v17
	v_bfe_u32 v18, v17, 20, 11
	v_cndmask_b32_e64 v3, 0, 1, vcc
	v_cmp_ne_u32_e32 vcc, 0, v15
	v_sub_u32_e32 v19, 0x3f1, v12
	v_and_or_b32 v3, v9, s15, v3
	v_cndmask_b32_e64 v15, 0, 1, vcc
	v_sub_u32_e32 v20, 0x3f1, v18
	v_med3_i32 v9, v19, 0, 13
	v_and_or_b32 v15, v16, s15, v15
	v_or_b32_e32 v19, 0x1000, v3
	v_add_u32_e32 v12, 0xfffffc10, v12
	v_med3_i32 v16, v20, 0, 13
	v_cmp_ne_u32_e32 vcc, 0, v3
	v_or_b32_e32 v21, 0x1000, v15
	v_lshrrev_b32_e32 v23, v9, v19
	v_add_u32_e32 v18, 0xfffffc10, v18
	v_lshl_or_b32 v20, v12, 12, v3
	v_cndmask_b32_e64 v3, 0, 1, vcc
	v_cmp_ne_u32_e32 vcc, 0, v15
	v_lshrrev_b32_e32 v24, v16, v21
	v_lshlrev_b32_e32 v9, v9, v23
	v_lshl_or_b32 v22, v18, 12, v15
	v_cndmask_b32_e64 v15, 0, 1, vcc
	v_lshlrev_b32_e32 v16, v16, v24
	v_cmp_ne_u32_e32 vcc, v9, v19
	v_lshl_or_b32 v3, v3, 9, v4
	v_lshl_or_b32 v15, v15, 9, v4
	v_cndmask_b32_e64 v9, 0, 1, vcc
	v_cmp_ne_u32_e32 vcc, v16, v21
	v_or_b32_e32 v9, v23, v9
	v_lshrrev_b32_e32 v17, 16, v17
	v_cndmask_b32_e64 v16, 0, 1, vcc
	v_cmp_gt_i32_e32 vcc, 1, v12
	v_or_b32_e32 v16, v24, v16
	s_nop 0
	v_cndmask_b32_e32 v9, v20, v9, vcc
	v_cmp_gt_i32_e32 vcc, 1, v18
	v_and_b32_e32 v19, 7, v9
	v_cmp_eq_u32_e64 s[0:1], 3, v19
	v_cndmask_b32_e32 v16, v22, v16, vcc
	v_cmp_lt_i32_e32 vcc, 5, v19
	v_lshrrev_b32_e32 v9, 2, v9
	v_and_b32_e32 v20, 7, v16
	s_or_b64 vcc, s[0:1], vcc
	v_cmp_lt_i32_e64 s[2:3], 5, v20
	v_cmp_eq_u32_e64 s[4:5], 3, v20
	v_addc_co_u32_e32 v9, vcc, 0, v9, vcc
	v_lshrrev_b32_e32 v16, 2, v16
	s_or_b64 vcc, s[4:5], s[2:3]
	v_addc_co_u32_e32 v16, vcc, 0, v16, vcc
	v_cmp_gt_i32_e32 vcc, 31, v12
	s_nop 1
	v_cndmask_b32_e32 v9, v4, v9, vcc
	v_cmp_gt_i32_e32 vcc, 31, v18
	s_nop 1
	v_cndmask_b32_e32 v16, v4, v16, vcc
	v_cmp_eq_u32_e32 vcc, s10, v12
	s_nop 1
	v_cndmask_b32_e32 v3, v9, v3, vcc
	v_cmp_eq_u32_e32 vcc, s10, v18
	v_bitop3_b32 v3, v14, s17, v3 bitop3:0xc8
	s_nop 0
	v_cndmask_b32_e32 v9, v16, v15, vcc
	v_and_or_b32 v9, v17, s14, v9
	v_lshl_or_b32 v3, v9, 16, v3
	global_store_dword v[10:11], v3, off
	global_load_dword v3, v34, s[12:13] offset:1920
	v_lshrrev_b32_e32 v9, 16, v13
	v_mad_u64_u32 v[10:11], s[0:1], s8, v5, v[10:11]
	v_add_u32_e32 v11, s11, v11
	s_waitcnt vmcnt(0)
	v_mul_f16_sdwa v12, v9, v3 dst_sel:DWORD dst_unused:UNUSED_PAD src0_sel:DWORD src1_sel:WORD_1
	v_mul_f16_sdwa v14, v13, v3 dst_sel:DWORD dst_unused:UNUSED_PAD src0_sel:DWORD src1_sel:WORD_1
	v_fma_f16 v12, v13, v3, v12
	v_fma_f16 v3, v3, v9, -v14
	v_cvt_f32_f16_e32 v9, v12
	v_cvt_f32_f16_e32 v3, v3
	v_cvt_f64_f32_e32 v[12:13], v9
	v_cvt_f64_f32_e32 v[14:15], v3
	v_mul_f64 v[12:13], v[12:13], s[6:7]
	v_mul_f64 v[14:15], v[14:15], s[6:7]
	v_and_or_b32 v3, v13, s16, v12
	v_and_or_b32 v14, v15, s16, v14
	v_cmp_ne_u32_e32 vcc, 0, v3
	v_lshrrev_b32_e32 v9, 8, v13
	v_bfe_u32 v12, v13, 20, 11
	v_cndmask_b32_e64 v3, 0, 1, vcc
	v_cmp_ne_u32_e32 vcc, 0, v14
	v_lshrrev_b32_e32 v16, 8, v15
	v_bfe_u32 v17, v15, 20, 11
	v_sub_u32_e32 v18, 0x3f1, v12
	v_cndmask_b32_e64 v14, 0, 1, vcc
	v_and_or_b32 v3, v9, s15, v3
	v_sub_u32_e32 v19, 0x3f1, v17
	v_med3_i32 v9, v18, 0, 13
	v_and_or_b32 v14, v16, s15, v14
	v_or_b32_e32 v18, 0x1000, v3
	v_add_u32_e32 v12, 0xfffffc10, v12
	v_med3_i32 v16, v19, 0, 13
	v_cmp_ne_u32_e32 vcc, 0, v3
	v_or_b32_e32 v20, 0x1000, v14
	v_lshrrev_b32_e32 v22, v9, v18
	v_add_u32_e32 v17, 0xfffffc10, v17
	v_lshl_or_b32 v19, v12, 12, v3
	v_cndmask_b32_e64 v3, 0, 1, vcc
	v_cmp_ne_u32_e32 vcc, 0, v14
	v_lshrrev_b32_e32 v23, v16, v20
	v_lshlrev_b32_e32 v9, v9, v22
	v_lshl_or_b32 v21, v17, 12, v14
	v_cndmask_b32_e64 v14, 0, 1, vcc
	v_lshlrev_b32_e32 v16, v16, v23
	v_cmp_ne_u32_e32 vcc, v9, v18
	v_lshl_or_b32 v3, v3, 9, v4
	v_lshl_or_b32 v14, v14, 9, v4
	v_cndmask_b32_e64 v9, 0, 1, vcc
	v_cmp_ne_u32_e32 vcc, v16, v20
	v_or_b32_e32 v9, v22, v9
	v_and_b32_sdwa v13, v13, s14 dst_sel:DWORD dst_unused:UNUSED_PAD src0_sel:WORD_1 src1_sel:DWORD
	v_cndmask_b32_e64 v16, 0, 1, vcc
	v_cmp_gt_i32_e32 vcc, 1, v12
	v_or_b32_e32 v16, v23, v16
	v_lshrrev_b32_e32 v15, 16, v15
	v_cndmask_b32_e32 v9, v19, v9, vcc
	v_cmp_gt_i32_e32 vcc, 1, v17
	v_and_b32_e32 v18, 7, v9
	v_cmp_eq_u32_e64 s[0:1], 3, v18
	v_cndmask_b32_e32 v16, v21, v16, vcc
	v_cmp_lt_i32_e32 vcc, 5, v18
	v_lshrrev_b32_e32 v9, 2, v9
	v_and_b32_e32 v19, 7, v16
	s_or_b64 vcc, s[0:1], vcc
	v_cmp_lt_i32_e64 s[2:3], 5, v19
	v_cmp_eq_u32_e64 s[4:5], 3, v19
	v_addc_co_u32_e32 v9, vcc, 0, v9, vcc
	v_lshrrev_b32_e32 v16, 2, v16
	s_or_b64 vcc, s[4:5], s[2:3]
	v_addc_co_u32_e32 v16, vcc, 0, v16, vcc
	v_cmp_gt_i32_e32 vcc, 31, v12
	s_nop 1
	v_cndmask_b32_e32 v9, v4, v9, vcc
	v_cmp_gt_i32_e32 vcc, 31, v17
	s_nop 1
	v_cndmask_b32_e32 v16, v4, v16, vcc
	v_cmp_eq_u32_e32 vcc, s10, v12
	s_nop 1
	v_cndmask_b32_e32 v3, v9, v3, vcc
	v_cmp_eq_u32_e32 vcc, s10, v17
	v_bitop3_b32 v3, v13, s17, v3 bitop3:0xc8
	ds_read2_b32 v[12:13], v2 offset0:48 offset1:128
	v_cndmask_b32_e32 v9, v16, v14, vcc
	v_and_or_b32 v9, v15, s14, v9
	v_lshl_or_b32 v3, v9, 16, v3
	global_store_dword v[10:11], v3, off
	global_load_dword v3, v34, s[12:13] offset:2240
	s_waitcnt lgkmcnt(0)
	v_lshrrev_b32_e32 v2, 16, v12
	s_waitcnt vmcnt(0)
	v_mul_f16_sdwa v9, v2, v3 dst_sel:DWORD dst_unused:UNUSED_PAD src0_sel:DWORD src1_sel:WORD_1
	v_mul_f16_sdwa v14, v12, v3 dst_sel:DWORD dst_unused:UNUSED_PAD src0_sel:DWORD src1_sel:WORD_1
	v_fma_f16 v9, v12, v3, v9
	v_fma_f16 v2, v3, v2, -v14
	v_cvt_f32_f16_e32 v9, v9
	v_cvt_f32_f16_e32 v12, v2
	v_mad_u64_u32 v[2:3], s[0:1], s8, v5, v[10:11]
	v_cvt_f64_f32_e32 v[10:11], v9
	v_cvt_f64_f32_e32 v[14:15], v12
	v_mul_f64 v[10:11], v[10:11], s[6:7]
	v_mul_f64 v[14:15], v[14:15], s[6:7]
	v_and_or_b32 v9, v11, s16, v10
	v_and_or_b32 v14, v15, s16, v14
	v_cmp_ne_u32_e32 vcc, 0, v9
	v_lshrrev_b32_e32 v10, 8, v11
	v_bfe_u32 v12, v11, 20, 11
	v_cndmask_b32_e64 v9, 0, 1, vcc
	v_cmp_ne_u32_e32 vcc, 0, v14
	v_lshrrev_b32_e32 v16, 8, v15
	v_bfe_u32 v17, v15, 20, 11
	v_sub_u32_e32 v18, 0x3f1, v12
	v_cndmask_b32_e64 v14, 0, 1, vcc
	v_and_or_b32 v9, v10, s15, v9
	v_sub_u32_e32 v19, 0x3f1, v17
	v_med3_i32 v10, v18, 0, 13
	v_and_or_b32 v14, v16, s15, v14
	v_or_b32_e32 v18, 0x1000, v9
	v_add_u32_e32 v12, 0xfffffc10, v12
	v_med3_i32 v16, v19, 0, 13
	v_cmp_ne_u32_e32 vcc, 0, v9
	v_or_b32_e32 v20, 0x1000, v14
	v_lshrrev_b32_e32 v22, v10, v18
	v_add_u32_e32 v17, 0xfffffc10, v17
	v_lshl_or_b32 v19, v12, 12, v9
	v_cndmask_b32_e64 v9, 0, 1, vcc
	v_cmp_ne_u32_e32 vcc, 0, v14
	v_lshrrev_b32_e32 v23, v16, v20
	v_lshlrev_b32_e32 v10, v10, v22
	v_lshl_or_b32 v21, v17, 12, v14
	v_cndmask_b32_e64 v14, 0, 1, vcc
	v_lshlrev_b32_e32 v16, v16, v23
	v_cmp_ne_u32_e32 vcc, v10, v18
	v_lshl_or_b32 v9, v9, 9, v4
	v_lshl_or_b32 v14, v14, 9, v4
	v_cndmask_b32_e64 v10, 0, 1, vcc
	v_cmp_ne_u32_e32 vcc, v16, v20
	v_or_b32_e32 v10, v22, v10
	v_and_b32_sdwa v11, v11, s14 dst_sel:DWORD dst_unused:UNUSED_PAD src0_sel:WORD_1 src1_sel:DWORD
	v_cndmask_b32_e64 v16, 0, 1, vcc
	v_cmp_gt_i32_e32 vcc, 1, v12
	v_or_b32_e32 v16, v23, v16
	v_lshrrev_b32_e32 v15, 16, v15
	v_cndmask_b32_e32 v10, v19, v10, vcc
	v_cmp_gt_i32_e32 vcc, 1, v17
	v_and_b32_e32 v18, 7, v10
	v_cmp_eq_u32_e64 s[0:1], 3, v18
	v_cndmask_b32_e32 v16, v21, v16, vcc
	v_cmp_lt_i32_e32 vcc, 5, v18
	v_lshrrev_b32_e32 v10, 2, v10
	v_and_b32_e32 v19, 7, v16
	s_or_b64 vcc, s[0:1], vcc
	v_cmp_lt_i32_e64 s[2:3], 5, v19
	v_cmp_eq_u32_e64 s[4:5], 3, v19
	v_addc_co_u32_e32 v10, vcc, 0, v10, vcc
	v_lshrrev_b32_e32 v16, 2, v16
	s_or_b64 vcc, s[4:5], s[2:3]
	v_addc_co_u32_e32 v16, vcc, 0, v16, vcc
	v_cmp_gt_i32_e32 vcc, 31, v12
	v_add_u32_e32 v3, s11, v3
	s_nop 0
	v_cndmask_b32_e32 v10, v4, v10, vcc
	v_cmp_gt_i32_e32 vcc, 31, v17
	s_nop 1
	v_cndmask_b32_e32 v16, v4, v16, vcc
	v_cmp_eq_u32_e32 vcc, s10, v12
	s_nop 1
	v_cndmask_b32_e32 v9, v10, v9, vcc
	v_cmp_eq_u32_e32 vcc, s10, v17
	v_bitop3_b32 v9, v11, s17, v9 bitop3:0xc8
	s_nop 0
	v_cndmask_b32_e32 v10, v16, v14, vcc
	v_and_or_b32 v10, v15, s14, v10
	v_lshl_or_b32 v9, v10, 16, v9
	global_store_dword v[2:3], v9, off
	global_load_dword v9, v34, s[12:13] offset:2560
	v_or_b32_e32 v14, 0x280, v210
	v_mad_u64_u32 v[10:11], s[0:1], s8, v14, 0
	v_mov_b32_e32 v12, v11
	v_lshrrev_b32_e32 v11, 16, v13
	v_mad_u64_u32 v[14:15], s[0:1], s9, v14, v[12:13]
	s_waitcnt vmcnt(0)
	v_mul_f16_sdwa v12, v11, v9 dst_sel:DWORD dst_unused:UNUSED_PAD src0_sel:DWORD src1_sel:WORD_1
	v_mul_f16_sdwa v15, v13, v9 dst_sel:DWORD dst_unused:UNUSED_PAD src0_sel:DWORD src1_sel:WORD_1
	v_fma_f16 v12, v13, v9, v12
	v_fma_f16 v9, v9, v11, -v15
	v_cvt_f32_f16_e32 v12, v12
	v_cvt_f32_f16_e32 v9, v9
	v_mov_b32_e32 v11, v14
	v_lshl_add_u64 v[10:11], v[10:11], 2, v[0:1]
	v_cvt_f64_f32_e32 v[12:13], v12
	v_cvt_f64_f32_e32 v[14:15], v9
	v_mul_f64 v[12:13], v[12:13], s[6:7]
	v_mul_f64 v[14:15], v[14:15], s[6:7]
	v_and_or_b32 v9, v13, s16, v12
	v_and_or_b32 v14, v15, s16, v14
	v_cmp_ne_u32_e32 vcc, 0, v9
	v_lshrrev_b32_e32 v12, 8, v13
	v_bfe_u32 v16, v13, 20, 11
	v_cndmask_b32_e64 v9, 0, 1, vcc
	v_cmp_ne_u32_e32 vcc, 0, v14
	v_lshrrev_b32_e32 v17, 8, v15
	v_bfe_u32 v18, v15, 20, 11
	v_sub_u32_e32 v19, 0x3f1, v16
	v_cndmask_b32_e64 v14, 0, 1, vcc
	v_and_or_b32 v9, v12, s15, v9
	v_sub_u32_e32 v20, 0x3f1, v18
	v_med3_i32 v12, v19, 0, 13
	v_and_or_b32 v14, v17, s15, v14
	v_or_b32_e32 v19, 0x1000, v9
	v_add_u32_e32 v16, 0xfffffc10, v16
	v_med3_i32 v17, v20, 0, 13
	v_cmp_ne_u32_e32 vcc, 0, v9
	v_or_b32_e32 v21, 0x1000, v14
	v_lshrrev_b32_e32 v23, v12, v19
	v_add_u32_e32 v18, 0xfffffc10, v18
	v_lshl_or_b32 v20, v16, 12, v9
	v_cndmask_b32_e64 v9, 0, 1, vcc
	v_cmp_ne_u32_e32 vcc, 0, v14
	v_lshrrev_b32_e32 v24, v17, v21
	v_lshlrev_b32_e32 v12, v12, v23
	v_lshl_or_b32 v22, v18, 12, v14
	v_cndmask_b32_e64 v14, 0, 1, vcc
	v_lshlrev_b32_e32 v17, v17, v24
	v_cmp_ne_u32_e32 vcc, v12, v19
	v_lshl_or_b32 v9, v9, 9, v4
	v_lshl_or_b32 v14, v14, 9, v4
	v_cndmask_b32_e64 v12, 0, 1, vcc
	v_cmp_ne_u32_e32 vcc, v17, v21
	v_or_b32_e32 v12, v23, v12
	v_and_b32_sdwa v13, v13, s14 dst_sel:DWORD dst_unused:UNUSED_PAD src0_sel:WORD_1 src1_sel:DWORD
	v_cndmask_b32_e64 v17, 0, 1, vcc
	v_cmp_gt_i32_e32 vcc, 1, v16
	v_or_b32_e32 v17, v24, v17
	v_lshrrev_b32_e32 v15, 16, v15
	v_cndmask_b32_e32 v12, v20, v12, vcc
	v_cmp_gt_i32_e32 vcc, 1, v18
	v_and_b32_e32 v19, 7, v12
	v_cmp_eq_u32_e64 s[0:1], 3, v19
	v_cndmask_b32_e32 v17, v22, v17, vcc
	v_cmp_lt_i32_e32 vcc, 5, v19
	v_lshrrev_b32_e32 v12, 2, v12
	v_and_b32_e32 v20, 7, v17
	s_or_b64 vcc, s[0:1], vcc
	v_cmp_lt_i32_e64 s[2:3], 5, v20
	v_cmp_eq_u32_e64 s[4:5], 3, v20
	v_addc_co_u32_e32 v12, vcc, 0, v12, vcc
	v_lshrrev_b32_e32 v17, 2, v17
	s_or_b64 vcc, s[4:5], s[2:3]
	v_addc_co_u32_e32 v17, vcc, 0, v17, vcc
	v_cmp_gt_i32_e32 vcc, 31, v16
	s_mul_i32 s2, s9, 0x280
	s_nop 0
	v_cndmask_b32_e32 v12, v4, v12, vcc
	v_cmp_gt_i32_e32 vcc, 31, v18
	s_nop 1
	v_cndmask_b32_e32 v17, v4, v17, vcc
	v_cmp_eq_u32_e32 vcc, s10, v16
	s_nop 1
	v_cndmask_b32_e32 v9, v12, v9, vcc
	v_cmp_eq_u32_e32 vcc, s10, v18
	v_bitop3_b32 v9, v13, s17, v9 bitop3:0xc8
	s_nop 0
	v_cndmask_b32_e32 v12, v17, v14, vcc
	v_and_or_b32 v12, v15, s14, v12
	v_lshl_or_b32 v9, v12, 16, v9
	global_store_dword v[10:11], v9, off
	global_load_dword v10, v34, s[12:13] offset:2880
	ds_read2_b32 v[8:9], v8 offset0:80 offset1:160
	v_mov_b32_e32 v11, 0x280
	v_mad_u64_u32 v[2:3], s[0:1], s8, v11, v[2:3]
	v_add_u32_e32 v3, s2, v3
	s_waitcnt lgkmcnt(0)
	v_lshrrev_b32_e32 v12, 16, v8
	s_waitcnt vmcnt(0)
	v_mul_f16_sdwa v13, v12, v10 dst_sel:DWORD dst_unused:UNUSED_PAD src0_sel:DWORD src1_sel:WORD_1
	v_mul_f16_sdwa v14, v8, v10 dst_sel:DWORD dst_unused:UNUSED_PAD src0_sel:DWORD src1_sel:WORD_1
	v_fma_f16 v8, v8, v10, v13
	v_fma_f16 v10, v10, v12, -v14
	v_cvt_f32_f16_e32 v8, v8
	v_cvt_f32_f16_e32 v12, v10
	v_cvt_f64_f32_e32 v[10:11], v8
	v_cvt_f64_f32_e32 v[12:13], v12
	v_mul_f64 v[10:11], v[10:11], s[6:7]
	v_mul_f64 v[12:13], v[12:13], s[6:7]
	v_and_or_b32 v8, v11, s16, v10
	v_and_or_b32 v12, v13, s16, v12
	v_cmp_ne_u32_e32 vcc, 0, v8
	v_lshrrev_b32_e32 v10, 8, v11
	v_bfe_u32 v14, v11, 20, 11
	v_cndmask_b32_e64 v8, 0, 1, vcc
	v_cmp_ne_u32_e32 vcc, 0, v12
	v_lshrrev_b32_e32 v15, 8, v13
	v_bfe_u32 v16, v13, 20, 11
	v_sub_u32_e32 v17, 0x3f1, v14
	v_cndmask_b32_e64 v12, 0, 1, vcc
	v_and_or_b32 v8, v10, s15, v8
	v_sub_u32_e32 v18, 0x3f1, v16
	v_med3_i32 v10, v17, 0, 13
	v_and_or_b32 v12, v15, s15, v12
	v_or_b32_e32 v17, 0x1000, v8
	v_add_u32_e32 v14, 0xfffffc10, v14
	v_med3_i32 v15, v18, 0, 13
	v_cmp_ne_u32_e32 vcc, 0, v8
	v_or_b32_e32 v19, 0x1000, v12
	v_lshrrev_b32_e32 v21, v10, v17
	v_add_u32_e32 v16, 0xfffffc10, v16
	v_lshl_or_b32 v18, v14, 12, v8
	v_cndmask_b32_e64 v8, 0, 1, vcc
	v_cmp_ne_u32_e32 vcc, 0, v12
	v_lshrrev_b32_e32 v22, v15, v19
	v_lshlrev_b32_e32 v10, v10, v21
	v_lshl_or_b32 v20, v16, 12, v12
	v_cndmask_b32_e64 v12, 0, 1, vcc
	v_lshlrev_b32_e32 v15, v15, v22
	v_cmp_ne_u32_e32 vcc, v10, v17
	v_lshl_or_b32 v8, v8, 9, v4
	v_lshl_or_b32 v12, v12, 9, v4
	v_cndmask_b32_e64 v10, 0, 1, vcc
	v_cmp_ne_u32_e32 vcc, v15, v19
	v_or_b32_e32 v10, v21, v10
	v_and_b32_sdwa v11, v11, s14 dst_sel:DWORD dst_unused:UNUSED_PAD src0_sel:WORD_1 src1_sel:DWORD
	v_cndmask_b32_e64 v15, 0, 1, vcc
	v_cmp_gt_i32_e32 vcc, 1, v14
	v_or_b32_e32 v15, v22, v15
	v_lshrrev_b32_e32 v13, 16, v13
	v_cndmask_b32_e32 v10, v18, v10, vcc
	v_cmp_gt_i32_e32 vcc, 1, v16
	v_and_b32_e32 v17, 7, v10
	v_cmp_eq_u32_e64 s[0:1], 3, v17
	v_cndmask_b32_e32 v15, v20, v15, vcc
	v_cmp_lt_i32_e32 vcc, 5, v17
	v_lshrrev_b32_e32 v10, 2, v10
	v_and_b32_e32 v18, 7, v15
	s_or_b64 vcc, s[0:1], vcc
	v_cmp_lt_i32_e64 s[2:3], 5, v18
	v_cmp_eq_u32_e64 s[4:5], 3, v18
	v_addc_co_u32_e32 v10, vcc, 0, v10, vcc
	v_lshrrev_b32_e32 v15, 2, v15
	s_or_b64 vcc, s[4:5], s[2:3]
	v_addc_co_u32_e32 v15, vcc, 0, v15, vcc
	v_cmp_gt_i32_e32 vcc, 31, v14
	s_nop 1
	v_cndmask_b32_e32 v10, v4, v10, vcc
	v_cmp_gt_i32_e32 vcc, 31, v16
	s_nop 1
	v_cndmask_b32_e32 v15, v4, v15, vcc
	v_cmp_eq_u32_e32 vcc, s10, v14
	s_nop 1
	v_cndmask_b32_e32 v8, v10, v8, vcc
	v_cmp_eq_u32_e32 vcc, s10, v16
	v_bitop3_b32 v8, v11, s17, v8 bitop3:0xc8
	s_nop 0
	v_cndmask_b32_e32 v10, v15, v12, vcc
	v_and_or_b32 v10, v13, s14, v10
	v_lshl_or_b32 v8, v10, 16, v8
	global_store_dword v[2:3], v8, off
	global_load_dword v8, v34, s[12:13] offset:3200
	v_lshrrev_b32_e32 v10, 16, v9
	v_mad_u64_u32 v[2:3], s[0:1], s8, v5, v[2:3]
	v_add_u32_e32 v3, s11, v3
	s_waitcnt vmcnt(0)
	v_mul_f16_sdwa v11, v10, v8 dst_sel:DWORD dst_unused:UNUSED_PAD src0_sel:DWORD src1_sel:WORD_1
	v_mul_f16_sdwa v12, v9, v8 dst_sel:DWORD dst_unused:UNUSED_PAD src0_sel:DWORD src1_sel:WORD_1
	v_fma_f16 v9, v9, v8, v11
	v_fma_f16 v8, v8, v10, -v12
	v_cvt_f32_f16_e32 v9, v9
	v_cvt_f32_f16_e32 v10, v8
	v_cvt_f64_f32_e32 v[8:9], v9
	v_cvt_f64_f32_e32 v[10:11], v10
	v_mul_f64 v[8:9], v[8:9], s[6:7]
	v_mul_f64 v[10:11], v[10:11], s[6:7]
	v_and_or_b32 v8, v9, s16, v8
	v_and_or_b32 v10, v11, s16, v10
	v_cmp_ne_u32_e32 vcc, 0, v8
	v_lshrrev_b32_e32 v12, 8, v9
	v_bfe_u32 v13, v9, 20, 11
	v_cndmask_b32_e64 v8, 0, 1, vcc
	v_cmp_ne_u32_e32 vcc, 0, v10
	v_lshrrev_b32_e32 v14, 8, v11
	v_bfe_u32 v15, v11, 20, 11
	v_sub_u32_e32 v16, 0x3f1, v13
	v_cndmask_b32_e64 v10, 0, 1, vcc
	v_and_or_b32 v8, v12, s15, v8
	v_sub_u32_e32 v17, 0x3f1, v15
	v_med3_i32 v12, v16, 0, 13
	v_and_or_b32 v10, v14, s15, v10
	v_or_b32_e32 v16, 0x1000, v8
	v_add_u32_e32 v13, 0xfffffc10, v13
	v_med3_i32 v14, v17, 0, 13
	v_cmp_ne_u32_e32 vcc, 0, v8
	v_or_b32_e32 v18, 0x1000, v10
	v_lshrrev_b32_e32 v20, v12, v16
	v_add_u32_e32 v15, 0xfffffc10, v15
	v_lshl_or_b32 v17, v13, 12, v8
	v_cndmask_b32_e64 v8, 0, 1, vcc
	v_cmp_ne_u32_e32 vcc, 0, v10
	v_lshrrev_b32_e32 v21, v14, v18
	v_lshlrev_b32_e32 v12, v12, v20
	v_lshl_or_b32 v19, v15, 12, v10
	v_cndmask_b32_e64 v10, 0, 1, vcc
	v_lshlrev_b32_e32 v14, v14, v21
	v_cmp_ne_u32_e32 vcc, v12, v16
	v_lshl_or_b32 v8, v8, 9, v4
	v_lshl_or_b32 v10, v10, 9, v4
	v_cndmask_b32_e64 v12, 0, 1, vcc
	v_cmp_ne_u32_e32 vcc, v14, v18
	v_or_b32_e32 v12, v20, v12
	v_and_b32_sdwa v9, v9, s14 dst_sel:DWORD dst_unused:UNUSED_PAD src0_sel:WORD_1 src1_sel:DWORD
	v_cndmask_b32_e64 v14, 0, 1, vcc
	v_cmp_gt_i32_e32 vcc, 1, v13
	v_or_b32_e32 v14, v21, v14
	v_lshrrev_b32_e32 v11, 16, v11
	v_cndmask_b32_e32 v12, v17, v12, vcc
	v_cmp_gt_i32_e32 vcc, 1, v15
	v_and_b32_e32 v16, 7, v12
	v_cmp_eq_u32_e64 s[0:1], 3, v16
	v_cndmask_b32_e32 v14, v19, v14, vcc
	v_cmp_lt_i32_e32 vcc, 5, v16
	v_lshrrev_b32_e32 v12, 2, v12
	v_and_b32_e32 v17, 7, v14
	s_or_b64 vcc, s[0:1], vcc
	v_cmp_lt_i32_e64 s[2:3], 5, v17
	v_cmp_eq_u32_e64 s[4:5], 3, v17
	v_addc_co_u32_e32 v12, vcc, 0, v12, vcc
	v_lshrrev_b32_e32 v14, 2, v14
	s_or_b64 vcc, s[4:5], s[2:3]
	v_addc_co_u32_e32 v14, vcc, 0, v14, vcc
	v_cmp_gt_i32_e32 vcc, 31, v13
	s_nop 1
	v_cndmask_b32_e32 v12, v4, v12, vcc
	v_cmp_gt_i32_e32 vcc, 31, v15
	s_nop 1
	v_cndmask_b32_e32 v14, v4, v14, vcc
	v_cmp_eq_u32_e32 vcc, s10, v13
	s_nop 1
	v_cndmask_b32_e32 v8, v12, v8, vcc
	v_cmp_eq_u32_e32 vcc, s10, v15
	v_bitop3_b32 v8, v9, s17, v8 bitop3:0xc8
	s_nop 0
	v_cndmask_b32_e32 v10, v14, v10, vcc
	v_and_or_b32 v10, v11, s14, v10
	v_lshl_or_b32 v8, v10, 16, v8
	global_store_dword v[2:3], v8, off
	global_load_dword v10, v34, s[12:13] offset:3520
	ds_read2_b32 v[8:9], v7 offset0:112 offset1:192
	s_waitcnt lgkmcnt(0)
	v_lshrrev_b32_e32 v7, 16, v8
	s_waitcnt vmcnt(0)
	v_mul_f16_sdwa v11, v7, v10 dst_sel:DWORD dst_unused:UNUSED_PAD src0_sel:DWORD src1_sel:WORD_1
	v_mul_f16_sdwa v12, v8, v10 dst_sel:DWORD dst_unused:UNUSED_PAD src0_sel:DWORD src1_sel:WORD_1
	v_fma_f16 v8, v8, v10, v11
	v_fma_f16 v7, v10, v7, -v12
	v_cvt_f32_f16_e32 v8, v8
	v_cvt_f32_f16_e32 v7, v7
	v_mad_u64_u32 v[10:11], s[0:1], s8, v5, v[2:3]
	v_cvt_f64_f32_e32 v[2:3], v8
	v_cvt_f64_f32_e32 v[12:13], v7
	v_mul_f64 v[2:3], v[2:3], s[6:7]
	v_mul_f64 v[12:13], v[12:13], s[6:7]
	v_and_or_b32 v2, v3, s16, v2
	v_and_or_b32 v12, v13, s16, v12
	v_cmp_ne_u32_e32 vcc, 0, v2
	v_lshrrev_b32_e32 v7, 8, v3
	v_bfe_u32 v8, v3, 20, 11
	v_cndmask_b32_e64 v2, 0, 1, vcc
	v_cmp_ne_u32_e32 vcc, 0, v12
	v_lshrrev_b32_e32 v14, 8, v13
	v_bfe_u32 v15, v13, 20, 11
	v_sub_u32_e32 v16, 0x3f1, v8
	v_cndmask_b32_e64 v12, 0, 1, vcc
	v_and_or_b32 v2, v7, s15, v2
	v_sub_u32_e32 v17, 0x3f1, v15
	v_med3_i32 v7, v16, 0, 13
	v_and_or_b32 v12, v14, s15, v12
	v_or_b32_e32 v16, 0x1000, v2
	v_add_u32_e32 v8, 0xfffffc10, v8
	v_med3_i32 v14, v17, 0, 13
	v_cmp_ne_u32_e32 vcc, 0, v2
	v_or_b32_e32 v18, 0x1000, v12
	v_lshrrev_b32_e32 v20, v7, v16
	v_add_u32_e32 v15, 0xfffffc10, v15
	v_lshl_or_b32 v17, v8, 12, v2
	v_cndmask_b32_e64 v2, 0, 1, vcc
	v_cmp_ne_u32_e32 vcc, 0, v12
	v_lshrrev_b32_e32 v21, v14, v18
	v_lshlrev_b32_e32 v7, v7, v20
	v_lshl_or_b32 v19, v15, 12, v12
	v_cndmask_b32_e64 v12, 0, 1, vcc
	v_lshlrev_b32_e32 v14, v14, v21
	v_cmp_ne_u32_e32 vcc, v7, v16
	v_lshl_or_b32 v2, v2, 9, v4
	v_lshl_or_b32 v12, v12, 9, v4
	v_cndmask_b32_e64 v7, 0, 1, vcc
	v_cmp_ne_u32_e32 vcc, v14, v18
	v_or_b32_e32 v7, v20, v7
	v_and_b32_sdwa v3, v3, s14 dst_sel:DWORD dst_unused:UNUSED_PAD src0_sel:WORD_1 src1_sel:DWORD
	v_cndmask_b32_e64 v14, 0, 1, vcc
	v_cmp_gt_i32_e32 vcc, 1, v8
	v_or_b32_e32 v14, v21, v14
	v_lshrrev_b32_e32 v13, 16, v13
	v_cndmask_b32_e32 v7, v17, v7, vcc
	v_cmp_gt_i32_e32 vcc, 1, v15
	v_and_b32_e32 v16, 7, v7
	v_cmp_eq_u32_e64 s[0:1], 3, v16
	v_cndmask_b32_e32 v14, v19, v14, vcc
	v_cmp_lt_i32_e32 vcc, 5, v16
	v_lshrrev_b32_e32 v7, 2, v7
	v_and_b32_e32 v17, 7, v14
	s_or_b64 vcc, s[0:1], vcc
	v_cmp_lt_i32_e64 s[2:3], 5, v17
	v_cmp_eq_u32_e64 s[4:5], 3, v17
	v_addc_co_u32_e32 v7, vcc, 0, v7, vcc
	v_lshrrev_b32_e32 v14, 2, v14
	s_or_b64 vcc, s[4:5], s[2:3]
	v_addc_co_u32_e32 v14, vcc, 0, v14, vcc
	v_cmp_gt_i32_e32 vcc, 31, v8
	v_add_u32_e32 v11, s11, v11
	s_nop 0
	v_cndmask_b32_e32 v7, v4, v7, vcc
	v_cmp_gt_i32_e32 vcc, 31, v15
	s_nop 1
	v_cndmask_b32_e32 v14, v4, v14, vcc
	v_cmp_eq_u32_e32 vcc, s10, v8
	v_lshrrev_b32_e32 v8, 16, v9
	s_nop 0
	v_cndmask_b32_e32 v2, v7, v2, vcc
	v_cmp_eq_u32_e32 vcc, s10, v15
	v_bitop3_b32 v2, v3, s17, v2 bitop3:0xc8
	s_nop 0
	v_cndmask_b32_e32 v7, v14, v12, vcc
	v_and_or_b32 v7, v13, s14, v7
	v_lshl_or_b32 v2, v7, 16, v2
	global_store_dword v[10:11], v2, off
	global_load_dword v7, v34, s[12:13] offset:3840
	v_lshl_add_u64 v[2:3], s[12:13], 0, v[34:35]
	v_add_co_u32_e32 v2, vcc, s18, v2
	s_waitcnt vmcnt(0)
	v_mul_f16_sdwa v12, v8, v7 dst_sel:DWORD dst_unused:UNUSED_PAD src0_sel:DWORD src1_sel:WORD_1
	v_mul_f16_sdwa v13, v9, v7 dst_sel:DWORD dst_unused:UNUSED_PAD src0_sel:DWORD src1_sel:WORD_1
	v_fma_f16 v9, v9, v7, v12
	v_fma_f16 v7, v7, v8, -v13
	v_cvt_f32_f16_e32 v12, v9
	v_cvt_f32_f16_e32 v7, v7
	v_mad_u64_u32 v[8:9], s[0:1], s8, v5, v[10:11]
	v_cvt_f64_f32_e32 v[10:11], v12
	v_cvt_f64_f32_e32 v[12:13], v7
	v_mul_f64 v[10:11], v[10:11], s[6:7]
	v_addc_co_u32_e32 v3, vcc, 0, v3, vcc
	v_mul_f64 v[12:13], v[12:13], s[6:7]
	v_and_or_b32 v7, v11, s16, v10
	v_and_or_b32 v12, v13, s16, v12
	v_cmp_ne_u32_e32 vcc, 0, v7
	v_lshrrev_b32_e32 v10, 8, v11
	v_bfe_u32 v14, v11, 20, 11
	v_cndmask_b32_e64 v7, 0, 1, vcc
	v_cmp_ne_u32_e32 vcc, 0, v12
	v_lshrrev_b32_e32 v15, 8, v13
	v_bfe_u32 v16, v13, 20, 11
	v_sub_u32_e32 v17, 0x3f1, v14
	v_cndmask_b32_e64 v12, 0, 1, vcc
	v_and_or_b32 v7, v10, s15, v7
	v_sub_u32_e32 v18, 0x3f1, v16
	v_med3_i32 v10, v17, 0, 13
	v_and_or_b32 v12, v15, s15, v12
	v_or_b32_e32 v17, 0x1000, v7
	v_add_u32_e32 v14, 0xfffffc10, v14
	v_med3_i32 v15, v18, 0, 13
	v_cmp_ne_u32_e32 vcc, 0, v7
	v_or_b32_e32 v19, 0x1000, v12
	v_lshrrev_b32_e32 v21, v10, v17
	v_add_u32_e32 v16, 0xfffffc10, v16
	v_lshl_or_b32 v18, v14, 12, v7
	v_cndmask_b32_e64 v7, 0, 1, vcc
	v_cmp_ne_u32_e32 vcc, 0, v12
	v_lshrrev_b32_e32 v22, v15, v19
	v_lshlrev_b32_e32 v10, v10, v21
	v_lshl_or_b32 v20, v16, 12, v12
	v_cndmask_b32_e64 v12, 0, 1, vcc
	v_lshlrev_b32_e32 v15, v15, v22
	v_cmp_ne_u32_e32 vcc, v10, v17
	v_lshl_or_b32 v7, v7, 9, v4
	v_lshl_or_b32 v12, v12, 9, v4
	v_cndmask_b32_e64 v10, 0, 1, vcc
	v_cmp_ne_u32_e32 vcc, v15, v19
	v_or_b32_e32 v10, v21, v10
	v_and_b32_sdwa v11, v11, s14 dst_sel:DWORD dst_unused:UNUSED_PAD src0_sel:WORD_1 src1_sel:DWORD
	v_cndmask_b32_e64 v15, 0, 1, vcc
	v_cmp_gt_i32_e32 vcc, 1, v14
	v_or_b32_e32 v15, v22, v15
	v_lshrrev_b32_e32 v13, 16, v13
	v_cndmask_b32_e32 v10, v18, v10, vcc
	v_cmp_gt_i32_e32 vcc, 1, v16
	v_and_b32_e32 v17, 7, v10
	v_cmp_eq_u32_e64 s[0:1], 3, v17
	v_cndmask_b32_e32 v15, v20, v15, vcc
	v_cmp_lt_i32_e32 vcc, 5, v17
	v_lshrrev_b32_e32 v10, 2, v10
	v_and_b32_e32 v18, 7, v15
	s_or_b64 vcc, s[0:1], vcc
	v_cmp_lt_i32_e64 s[2:3], 5, v18
	v_cmp_eq_u32_e64 s[4:5], 3, v18
	v_addc_co_u32_e32 v10, vcc, 0, v10, vcc
	v_lshrrev_b32_e32 v15, 2, v15
	s_or_b64 vcc, s[4:5], s[2:3]
	v_addc_co_u32_e32 v15, vcc, 0, v15, vcc
	v_cmp_gt_i32_e32 vcc, 31, v14
	v_add_u32_e32 v9, s11, v9
	s_nop 0
	v_cndmask_b32_e32 v10, v4, v10, vcc
	v_cmp_gt_i32_e32 vcc, 31, v16
	s_nop 1
	v_cndmask_b32_e32 v15, v4, v15, vcc
	v_cmp_eq_u32_e32 vcc, s10, v14
	s_nop 1
	v_cndmask_b32_e32 v7, v10, v7, vcc
	v_cmp_eq_u32_e32 vcc, s10, v16
	v_bitop3_b32 v7, v11, s17, v7 bitop3:0xc8
	s_nop 0
	v_cndmask_b32_e32 v10, v15, v12, vcc
	v_and_or_b32 v10, v13, s14, v10
	v_lshl_or_b32 v7, v10, 16, v7
	global_store_dword v[8:9], v7, off
	global_load_dword v10, v[2:3], off offset:64
	ds_read2_b32 v[6:7], v6 offset0:16 offset1:96
	v_mad_u64_u32 v[8:9], s[0:1], s8, v5, v[8:9]
	v_add_u32_e32 v9, s11, v9
	s_waitcnt lgkmcnt(0)
	v_lshrrev_b32_e32 v11, 16, v6
	s_waitcnt vmcnt(0)
	v_mul_f16_sdwa v12, v11, v10 dst_sel:DWORD dst_unused:UNUSED_PAD src0_sel:DWORD src1_sel:WORD_1
	v_mul_f16_sdwa v13, v6, v10 dst_sel:DWORD dst_unused:UNUSED_PAD src0_sel:DWORD src1_sel:WORD_1
	v_fma_f16 v6, v6, v10, v12
	v_fma_f16 v10, v10, v11, -v13
	v_cvt_f32_f16_e32 v6, v6
	v_cvt_f32_f16_e32 v12, v10
	v_cvt_f64_f32_e32 v[10:11], v6
	v_cvt_f64_f32_e32 v[12:13], v12
	v_mul_f64 v[10:11], v[10:11], s[6:7]
	v_mul_f64 v[12:13], v[12:13], s[6:7]
	v_and_or_b32 v6, v11, s16, v10
	v_and_or_b32 v12, v13, s16, v12
	v_cmp_ne_u32_e32 vcc, 0, v6
	v_lshrrev_b32_e32 v10, 8, v11
	v_bfe_u32 v14, v11, 20, 11
	v_cndmask_b32_e64 v6, 0, 1, vcc
	v_cmp_ne_u32_e32 vcc, 0, v12
	v_lshrrev_b32_e32 v15, 8, v13
	v_bfe_u32 v16, v13, 20, 11
	v_sub_u32_e32 v17, 0x3f1, v14
	v_cndmask_b32_e64 v12, 0, 1, vcc
	v_and_or_b32 v6, v10, s15, v6
	v_sub_u32_e32 v18, 0x3f1, v16
	v_med3_i32 v10, v17, 0, 13
	v_and_or_b32 v12, v15, s15, v12
	v_or_b32_e32 v17, 0x1000, v6
	v_add_u32_e32 v14, 0xfffffc10, v14
	v_med3_i32 v15, v18, 0, 13
	v_cmp_ne_u32_e32 vcc, 0, v6
	v_or_b32_e32 v19, 0x1000, v12
	v_lshrrev_b32_e32 v21, v10, v17
	v_add_u32_e32 v16, 0xfffffc10, v16
	v_lshl_or_b32 v18, v14, 12, v6
	v_cndmask_b32_e64 v6, 0, 1, vcc
	v_cmp_ne_u32_e32 vcc, 0, v12
	v_lshrrev_b32_e32 v22, v15, v19
	v_lshlrev_b32_e32 v10, v10, v21
	v_lshl_or_b32 v20, v16, 12, v12
	v_cndmask_b32_e64 v12, 0, 1, vcc
	v_lshlrev_b32_e32 v15, v15, v22
	v_cmp_ne_u32_e32 vcc, v10, v17
	v_lshl_or_b32 v6, v6, 9, v4
	v_lshl_or_b32 v12, v12, 9, v4
	v_cndmask_b32_e64 v10, 0, 1, vcc
	v_cmp_ne_u32_e32 vcc, v15, v19
	v_or_b32_e32 v10, v21, v10
	v_and_b32_sdwa v11, v11, s14 dst_sel:DWORD dst_unused:UNUSED_PAD src0_sel:WORD_1 src1_sel:DWORD
	v_cndmask_b32_e64 v15, 0, 1, vcc
	v_cmp_gt_i32_e32 vcc, 1, v14
	v_or_b32_e32 v15, v22, v15
	v_lshrrev_b32_e32 v13, 16, v13
	v_cndmask_b32_e32 v10, v18, v10, vcc
	v_cmp_gt_i32_e32 vcc, 1, v16
	v_and_b32_e32 v17, 7, v10
	v_cmp_eq_u32_e64 s[0:1], 3, v17
	v_cndmask_b32_e32 v15, v20, v15, vcc
	v_cmp_lt_i32_e32 vcc, 5, v17
	v_lshrrev_b32_e32 v10, 2, v10
	v_and_b32_e32 v18, 7, v15
	s_or_b64 vcc, s[0:1], vcc
	v_cmp_lt_i32_e64 s[2:3], 5, v18
	v_cmp_eq_u32_e64 s[4:5], 3, v18
	v_addc_co_u32_e32 v10, vcc, 0, v10, vcc
	v_lshrrev_b32_e32 v15, 2, v15
	s_or_b64 vcc, s[4:5], s[2:3]
	v_addc_co_u32_e32 v15, vcc, 0, v15, vcc
	v_cmp_gt_i32_e32 vcc, 31, v14
	s_nop 1
	v_cndmask_b32_e32 v10, v4, v10, vcc
	v_cmp_gt_i32_e32 vcc, 31, v16
	s_nop 1
	v_cndmask_b32_e32 v15, v4, v15, vcc
	v_cmp_eq_u32_e32 vcc, s10, v14
	s_nop 1
	v_cndmask_b32_e32 v6, v10, v6, vcc
	v_cmp_eq_u32_e32 vcc, s10, v16
	v_bitop3_b32 v6, v11, s17, v6 bitop3:0xc8
	s_nop 0
	v_cndmask_b32_e32 v10, v15, v12, vcc
	v_and_or_b32 v10, v13, s14, v10
	v_lshl_or_b32 v6, v10, 16, v6
	global_store_dword v[8:9], v6, off
	global_load_dword v6, v[2:3], off offset:384
	v_lshrrev_b32_e32 v10, 16, v7
	s_waitcnt vmcnt(0)
	v_mul_f16_sdwa v11, v10, v6 dst_sel:DWORD dst_unused:UNUSED_PAD src0_sel:DWORD src1_sel:WORD_1
	v_mul_f16_sdwa v12, v7, v6 dst_sel:DWORD dst_unused:UNUSED_PAD src0_sel:DWORD src1_sel:WORD_1
	v_fma_f16 v7, v7, v6, v11
	v_fma_f16 v6, v6, v10, -v12
	v_cvt_f32_f16_e32 v10, v7
	v_cvt_f32_f16_e32 v11, v6
	v_mad_u64_u32 v[6:7], s[0:1], s8, v5, v[8:9]
	v_cvt_f64_f32_e32 v[8:9], v10
	v_cvt_f64_f32_e32 v[10:11], v11
	v_mul_f64 v[8:9], v[8:9], s[6:7]
	v_mul_f64 v[10:11], v[10:11], s[6:7]
	v_and_or_b32 v8, v9, s16, v8
	v_and_or_b32 v10, v11, s16, v10
	v_cmp_ne_u32_e32 vcc, 0, v8
	v_lshrrev_b32_e32 v12, 8, v9
	v_bfe_u32 v13, v9, 20, 11
	v_cndmask_b32_e64 v8, 0, 1, vcc
	v_cmp_ne_u32_e32 vcc, 0, v10
	v_lshrrev_b32_e32 v14, 8, v11
	v_bfe_u32 v15, v11, 20, 11
	v_sub_u32_e32 v16, 0x3f1, v13
	v_cndmask_b32_e64 v10, 0, 1, vcc
	v_and_or_b32 v8, v12, s15, v8
	v_sub_u32_e32 v17, 0x3f1, v15
	v_med3_i32 v12, v16, 0, 13
	v_and_or_b32 v10, v14, s15, v10
	v_or_b32_e32 v16, 0x1000, v8
	v_add_u32_e32 v13, 0xfffffc10, v13
	v_med3_i32 v14, v17, 0, 13
	v_cmp_ne_u32_e32 vcc, 0, v8
	v_or_b32_e32 v18, 0x1000, v10
	v_lshrrev_b32_e32 v20, v12, v16
	v_add_u32_e32 v15, 0xfffffc10, v15
	v_lshl_or_b32 v17, v13, 12, v8
	v_cndmask_b32_e64 v8, 0, 1, vcc
	v_cmp_ne_u32_e32 vcc, 0, v10
	v_lshrrev_b32_e32 v21, v14, v18
	v_lshlrev_b32_e32 v12, v12, v20
	v_lshl_or_b32 v19, v15, 12, v10
	v_cndmask_b32_e64 v10, 0, 1, vcc
	v_lshlrev_b32_e32 v14, v14, v21
	v_cmp_ne_u32_e32 vcc, v12, v16
	v_lshl_or_b32 v8, v8, 9, v4
	v_lshl_or_b32 v10, v10, 9, v4
	v_cndmask_b32_e64 v12, 0, 1, vcc
	v_cmp_ne_u32_e32 vcc, v14, v18
	v_or_b32_e32 v12, v20, v12
	v_and_b32_sdwa v9, v9, s14 dst_sel:DWORD dst_unused:UNUSED_PAD src0_sel:WORD_1 src1_sel:DWORD
	v_cndmask_b32_e64 v14, 0, 1, vcc
	v_cmp_gt_i32_e32 vcc, 1, v13
	v_or_b32_e32 v14, v21, v14
	v_lshrrev_b32_e32 v11, 16, v11
	v_cndmask_b32_e32 v12, v17, v12, vcc
	v_cmp_gt_i32_e32 vcc, 1, v15
	v_and_b32_e32 v16, 7, v12
	v_cmp_eq_u32_e64 s[0:1], 3, v16
	v_cndmask_b32_e32 v14, v19, v14, vcc
	v_cmp_lt_i32_e32 vcc, 5, v16
	v_lshrrev_b32_e32 v12, 2, v12
	v_and_b32_e32 v17, 7, v14
	s_or_b64 vcc, s[0:1], vcc
	v_cmp_lt_i32_e64 s[2:3], 5, v17
	v_cmp_eq_u32_e64 s[4:5], 3, v17
	v_addc_co_u32_e32 v12, vcc, 0, v12, vcc
	v_lshrrev_b32_e32 v14, 2, v14
	s_or_b64 vcc, s[4:5], s[2:3]
	v_addc_co_u32_e32 v14, vcc, 0, v14, vcc
	v_cmp_gt_i32_e32 vcc, 31, v13
	v_add_u32_e32 v7, s11, v7
	s_nop 0
	v_cndmask_b32_e32 v12, v4, v12, vcc
	v_cmp_gt_i32_e32 vcc, 31, v15
	s_nop 1
	v_cndmask_b32_e32 v14, v4, v14, vcc
	v_cmp_eq_u32_e32 vcc, s10, v13
	s_nop 1
	v_cndmask_b32_e32 v8, v12, v8, vcc
	v_cmp_eq_u32_e32 vcc, s10, v15
	v_bitop3_b32 v8, v9, s17, v8 bitop3:0xc8
	v_or_b32_e32 v12, 0x500, v210
	v_cndmask_b32_e32 v10, v14, v10, vcc
	v_and_or_b32 v10, v11, s14, v10
	v_lshl_or_b32 v8, v10, 16, v8
	global_store_dword v[6:7], v8, off
	global_load_dword v8, v[2:3], off offset:704
	v_add_u32_e32 v2, 0x1200, v31
	ds_read2_b32 v[2:3], v2 offset0:48 offset1:128
	v_mad_u64_u32 v[6:7], s[0:1], s8, v5, v[6:7]
	v_add_u32_e32 v7, s11, v7
	v_lshlrev_b32_e32 v13, 2, v12
	s_waitcnt lgkmcnt(0)
	v_lshrrev_b32_e32 v9, 16, v2
	s_waitcnt vmcnt(0)
	v_mul_f16_sdwa v10, v9, v8 dst_sel:DWORD dst_unused:UNUSED_PAD src0_sel:DWORD src1_sel:WORD_1
	v_mul_f16_sdwa v11, v2, v8 dst_sel:DWORD dst_unused:UNUSED_PAD src0_sel:DWORD src1_sel:WORD_1
	v_fma_f16 v2, v2, v8, v10
	v_fma_f16 v8, v8, v9, -v11
	v_cvt_f32_f16_e32 v2, v2
	v_cvt_f32_f16_e32 v10, v8
	v_cvt_f64_f32_e32 v[8:9], v2
	v_cvt_f64_f32_e32 v[10:11], v10
	v_mul_f64 v[8:9], v[8:9], s[6:7]
	v_mul_f64 v[10:11], v[10:11], s[6:7]
	v_and_or_b32 v2, v9, s16, v8
	v_and_or_b32 v10, v11, s16, v10
	v_cmp_ne_u32_e32 vcc, 0, v2
	v_lshrrev_b32_e32 v5, 8, v9
	v_bfe_u32 v8, v9, 20, 11
	v_cndmask_b32_e64 v2, 0, 1, vcc
	v_cmp_ne_u32_e32 vcc, 0, v10
	v_lshrrev_b32_e32 v14, 8, v11
	v_bfe_u32 v15, v11, 20, 11
	v_sub_u32_e32 v16, 0x3f1, v8
	v_cndmask_b32_e64 v10, 0, 1, vcc
	v_and_or_b32 v2, v5, s15, v2
	v_sub_u32_e32 v17, 0x3f1, v15
	v_med3_i32 v5, v16, 0, 13
	v_and_or_b32 v10, v14, s15, v10
	v_or_b32_e32 v16, 0x1000, v2
	v_add_u32_e32 v8, 0xfffffc10, v8
	v_med3_i32 v14, v17, 0, 13
	v_cmp_ne_u32_e32 vcc, 0, v2
	v_or_b32_e32 v18, 0x1000, v10
	v_lshrrev_b32_e32 v20, v5, v16
	v_add_u32_e32 v15, 0xfffffc10, v15
	v_lshl_or_b32 v17, v8, 12, v2
	v_cndmask_b32_e64 v2, 0, 1, vcc
	v_cmp_ne_u32_e32 vcc, 0, v10
	v_lshrrev_b32_e32 v21, v14, v18
	v_lshlrev_b32_e32 v5, v5, v20
	v_lshl_or_b32 v19, v15, 12, v10
	v_cndmask_b32_e64 v10, 0, 1, vcc
	v_lshlrev_b32_e32 v14, v14, v21
	v_cmp_ne_u32_e32 vcc, v5, v16
	v_lshl_or_b32 v2, v2, 9, v4
	v_lshl_or_b32 v10, v10, 9, v4
	v_cndmask_b32_e64 v5, 0, 1, vcc
	v_cmp_ne_u32_e32 vcc, v14, v18
	v_or_b32_e32 v5, v20, v5
	v_and_b32_sdwa v9, v9, s14 dst_sel:DWORD dst_unused:UNUSED_PAD src0_sel:WORD_1 src1_sel:DWORD
	v_cndmask_b32_e64 v14, 0, 1, vcc
	v_cmp_gt_i32_e32 vcc, 1, v8
	v_or_b32_e32 v14, v21, v14
	v_lshrrev_b32_e32 v11, 16, v11
	v_cndmask_b32_e32 v5, v17, v5, vcc
	v_cmp_gt_i32_e32 vcc, 1, v15
	v_and_b32_e32 v16, 7, v5
	v_cmp_eq_u32_e64 s[0:1], 3, v16
	v_cndmask_b32_e32 v14, v19, v14, vcc
	v_cmp_lt_i32_e32 vcc, 5, v16
	v_lshrrev_b32_e32 v5, 2, v5
	v_and_b32_e32 v17, 7, v14
	s_or_b64 vcc, s[0:1], vcc
	v_cmp_lt_i32_e64 s[2:3], 5, v17
	v_cmp_eq_u32_e64 s[4:5], 3, v17
	v_addc_co_u32_e32 v5, vcc, 0, v5, vcc
	v_lshrrev_b32_e32 v14, 2, v14
	s_or_b64 vcc, s[4:5], s[2:3]
	v_addc_co_u32_e32 v14, vcc, 0, v14, vcc
	v_cmp_gt_i32_e32 vcc, 31, v8
	s_nop 1
	v_cndmask_b32_e32 v5, v4, v5, vcc
	v_cmp_gt_i32_e32 vcc, 31, v15
	s_nop 1
	v_cndmask_b32_e32 v14, v4, v14, vcc
	v_cmp_eq_u32_e32 vcc, s10, v8
	s_nop 1
	v_cndmask_b32_e32 v2, v5, v2, vcc
	v_cmp_eq_u32_e32 vcc, s10, v15
	v_bitop3_b32 v2, v9, s17, v2 bitop3:0xc8
	s_nop 0
	v_cndmask_b32_e32 v5, v14, v10, vcc
	v_and_or_b32 v5, v11, s14, v5
	v_lshl_or_b32 v2, v5, 16, v2
	global_store_dword v[6:7], v2, off
	global_load_dword v5, v13, s[12:13]
	v_mad_u64_u32 v[6:7], s[0:1], s8, v12, 0
	v_mov_b32_e32 v2, v7
	v_lshrrev_b32_e32 v7, 16, v3
	s_waitcnt vmcnt(0)
	v_mul_f16_sdwa v8, v7, v5 dst_sel:DWORD dst_unused:UNUSED_PAD src0_sel:DWORD src1_sel:WORD_1
	v_mul_f16_sdwa v9, v3, v5 dst_sel:DWORD dst_unused:UNUSED_PAD src0_sel:DWORD src1_sel:WORD_1
	v_fma_f16 v3, v3, v5, v8
	v_fma_f16 v5, v5, v7, -v9
	v_cvt_f32_f16_e32 v8, v3
	v_cvt_f32_f16_e32 v5, v5
	v_mad_u64_u32 v[2:3], s[0:1], s9, v12, v[2:3]
	v_mov_b32_e32 v7, v2
	v_cvt_f64_f32_e32 v[2:3], v8
	v_cvt_f64_f32_e32 v[8:9], v5
	v_mul_f64 v[2:3], v[2:3], s[6:7]
	v_mul_f64 v[8:9], v[8:9], s[6:7]
	v_and_or_b32 v2, v3, s16, v2
	v_and_or_b32 v8, v9, s16, v8
	v_cmp_ne_u32_e32 vcc, 0, v2
	v_lshrrev_b32_e32 v5, 8, v3
	v_bfe_u32 v10, v3, 20, 11
	v_cndmask_b32_e64 v2, 0, 1, vcc
	v_cmp_ne_u32_e32 vcc, 0, v8
	v_lshrrev_b32_e32 v11, 8, v9
	v_bfe_u32 v12, v9, 20, 11
	v_sub_u32_e32 v13, 0x3f1, v10
	v_cndmask_b32_e64 v8, 0, 1, vcc
	v_and_or_b32 v2, v5, s15, v2
	v_sub_u32_e32 v14, 0x3f1, v12
	v_med3_i32 v5, v13, 0, 13
	v_and_or_b32 v8, v11, s15, v8
	v_or_b32_e32 v13, 0x1000, v2
	v_add_u32_e32 v10, 0xfffffc10, v10
	v_med3_i32 v11, v14, 0, 13
	v_cmp_ne_u32_e32 vcc, 0, v2
	v_or_b32_e32 v15, 0x1000, v8
	v_lshrrev_b32_e32 v17, v5, v13
	v_add_u32_e32 v12, 0xfffffc10, v12
	v_lshl_or_b32 v14, v10, 12, v2
	v_cndmask_b32_e64 v2, 0, 1, vcc
	v_cmp_ne_u32_e32 vcc, 0, v8
	v_lshrrev_b32_e32 v18, v11, v15
	v_lshlrev_b32_e32 v5, v5, v17
	v_lshl_or_b32 v16, v12, 12, v8
	v_cndmask_b32_e64 v8, 0, 1, vcc
	v_lshlrev_b32_e32 v11, v11, v18
	v_cmp_ne_u32_e32 vcc, v5, v13
	v_lshl_or_b32 v2, v2, 9, v4
	v_lshl_or_b32 v8, v8, 9, v4
	v_cndmask_b32_e64 v5, 0, 1, vcc
	v_cmp_ne_u32_e32 vcc, v11, v15
	v_or_b32_e32 v5, v17, v5
	v_and_b32_sdwa v3, v3, s14 dst_sel:DWORD dst_unused:UNUSED_PAD src0_sel:WORD_1 src1_sel:DWORD
	v_cndmask_b32_e64 v11, 0, 1, vcc
	v_cmp_gt_i32_e32 vcc, 1, v10
	v_or_b32_e32 v11, v18, v11
	v_lshrrev_b32_e32 v9, 16, v9
	v_cndmask_b32_e32 v5, v14, v5, vcc
	v_cmp_gt_i32_e32 vcc, 1, v12
	v_and_b32_e32 v13, 7, v5
	v_cmp_eq_u32_e64 s[0:1], 3, v13
	v_cndmask_b32_e32 v11, v16, v11, vcc
	v_cmp_lt_i32_e32 vcc, 5, v13
	v_lshrrev_b32_e32 v5, 2, v5
	v_and_b32_e32 v14, 7, v11
	s_or_b64 vcc, s[0:1], vcc
	v_cmp_lt_i32_e64 s[2:3], 5, v14
	v_cmp_eq_u32_e64 s[4:5], 3, v14
	v_addc_co_u32_e32 v5, vcc, 0, v5, vcc
	v_lshrrev_b32_e32 v11, 2, v11
	s_or_b64 vcc, s[4:5], s[2:3]
	v_addc_co_u32_e32 v11, vcc, 0, v11, vcc
	v_cmp_gt_i32_e32 vcc, 31, v10
	v_lshl_add_u64 v[0:1], v[6:7], 2, v[0:1]
	s_nop 0
	v_cndmask_b32_e32 v5, v4, v5, vcc
	v_cmp_gt_i32_e32 vcc, 31, v12
	s_nop 1
	v_cndmask_b32_e32 v4, v4, v11, vcc
	v_cmp_eq_u32_e32 vcc, s10, v10
	s_nop 1
	v_cndmask_b32_e32 v2, v5, v2, vcc
	v_cmp_eq_u32_e32 vcc, s10, v12
	v_bitop3_b32 v2, v3, s17, v2 bitop3:0xc8
	s_nop 0
	v_cndmask_b32_e32 v4, v4, v8, vcc
	v_and_or_b32 v4, v9, s14, v4
	v_lshl_or_b32 v2, v4, 16, v2
	global_store_dword v[0:1], v2, off
.LBB0_23:
	s_endpgm
	.section	.rodata,"a",@progbits
	.p2align	6, 0x0
	.amdhsa_kernel bluestein_single_back_len1360_dim1_half_op_CI_CI
		.amdhsa_group_segment_fixed_size 16320
		.amdhsa_private_segment_fixed_size 0
		.amdhsa_kernarg_size 104
		.amdhsa_user_sgpr_count 2
		.amdhsa_user_sgpr_dispatch_ptr 0
		.amdhsa_user_sgpr_queue_ptr 0
		.amdhsa_user_sgpr_kernarg_segment_ptr 1
		.amdhsa_user_sgpr_dispatch_id 0
		.amdhsa_user_sgpr_kernarg_preload_length 0
		.amdhsa_user_sgpr_kernarg_preload_offset 0
		.amdhsa_user_sgpr_private_segment_size 0
		.amdhsa_uses_dynamic_stack 0
		.amdhsa_enable_private_segment 0
		.amdhsa_system_sgpr_workgroup_id_x 1
		.amdhsa_system_sgpr_workgroup_id_y 0
		.amdhsa_system_sgpr_workgroup_id_z 0
		.amdhsa_system_sgpr_workgroup_info 0
		.amdhsa_system_vgpr_workitem_id 0
		.amdhsa_next_free_vgpr 274
		.amdhsa_next_free_sgpr 35
		.amdhsa_accum_offset 256
		.amdhsa_reserve_vcc 1
		.amdhsa_float_round_mode_32 0
		.amdhsa_float_round_mode_16_64 0
		.amdhsa_float_denorm_mode_32 3
		.amdhsa_float_denorm_mode_16_64 3
		.amdhsa_dx10_clamp 1
		.amdhsa_ieee_mode 1
		.amdhsa_fp16_overflow 0
		.amdhsa_tg_split 0
		.amdhsa_exception_fp_ieee_invalid_op 0
		.amdhsa_exception_fp_denorm_src 0
		.amdhsa_exception_fp_ieee_div_zero 0
		.amdhsa_exception_fp_ieee_overflow 0
		.amdhsa_exception_fp_ieee_underflow 0
		.amdhsa_exception_fp_ieee_inexact 0
		.amdhsa_exception_int_div_zero 0
	.end_amdhsa_kernel
	.text
.Lfunc_end0:
	.size	bluestein_single_back_len1360_dim1_half_op_CI_CI, .Lfunc_end0-bluestein_single_back_len1360_dim1_half_op_CI_CI
                                        ; -- End function
	.section	.AMDGPU.csdata,"",@progbits
; Kernel info:
; codeLenInByte = 31932
; NumSgprs: 41
; NumVgprs: 256
; NumAgprs: 18
; TotalNumVgprs: 274
; ScratchSize: 0
; MemoryBound: 0
; FloatMode: 240
; IeeeMode: 1
; LDSByteSize: 16320 bytes/workgroup (compile time only)
; SGPRBlocks: 5
; VGPRBlocks: 34
; NumSGPRsForWavesPerEU: 41
; NumVGPRsForWavesPerEU: 274
; AccumOffset: 256
; Occupancy: 1
; WaveLimiterHint : 1
; COMPUTE_PGM_RSRC2:SCRATCH_EN: 0
; COMPUTE_PGM_RSRC2:USER_SGPR: 2
; COMPUTE_PGM_RSRC2:TRAP_HANDLER: 0
; COMPUTE_PGM_RSRC2:TGID_X_EN: 1
; COMPUTE_PGM_RSRC2:TGID_Y_EN: 0
; COMPUTE_PGM_RSRC2:TGID_Z_EN: 0
; COMPUTE_PGM_RSRC2:TIDIG_COMP_CNT: 0
; COMPUTE_PGM_RSRC3_GFX90A:ACCUM_OFFSET: 63
; COMPUTE_PGM_RSRC3_GFX90A:TG_SPLIT: 0
	.text
	.p2alignl 6, 3212836864
	.fill 256, 4, 3212836864
	.type	__hip_cuid_e564a8e723d0b6c4,@object ; @__hip_cuid_e564a8e723d0b6c4
	.section	.bss,"aw",@nobits
	.globl	__hip_cuid_e564a8e723d0b6c4
__hip_cuid_e564a8e723d0b6c4:
	.byte	0                               ; 0x0
	.size	__hip_cuid_e564a8e723d0b6c4, 1

	.ident	"AMD clang version 19.0.0git (https://github.com/RadeonOpenCompute/llvm-project roc-6.4.0 25133 c7fe45cf4b819c5991fe208aaa96edf142730f1d)"
	.section	".note.GNU-stack","",@progbits
	.addrsig
	.addrsig_sym __hip_cuid_e564a8e723d0b6c4
	.amdgpu_metadata
---
amdhsa.kernels:
  - .agpr_count:     18
    .args:
      - .actual_access:  read_only
        .address_space:  global
        .offset:         0
        .size:           8
        .value_kind:     global_buffer
      - .actual_access:  read_only
        .address_space:  global
        .offset:         8
        .size:           8
        .value_kind:     global_buffer
      - .actual_access:  read_only
        .address_space:  global
        .offset:         16
        .size:           8
        .value_kind:     global_buffer
      - .actual_access:  read_only
        .address_space:  global
        .offset:         24
        .size:           8
        .value_kind:     global_buffer
      - .actual_access:  read_only
        .address_space:  global
        .offset:         32
        .size:           8
        .value_kind:     global_buffer
      - .offset:         40
        .size:           8
        .value_kind:     by_value
      - .address_space:  global
        .offset:         48
        .size:           8
        .value_kind:     global_buffer
      - .address_space:  global
        .offset:         56
        .size:           8
        .value_kind:     global_buffer
      - .address_space:  global
        .offset:         64
        .size:           8
        .value_kind:     global_buffer
      - .address_space:  global
        .offset:         72
        .size:           8
        .value_kind:     global_buffer
      - .offset:         80
        .size:           4
        .value_kind:     by_value
      - .address_space:  global
        .offset:         88
        .size:           8
        .value_kind:     global_buffer
      - .address_space:  global
        .offset:         96
        .size:           8
        .value_kind:     global_buffer
    .group_segment_fixed_size: 16320
    .kernarg_segment_align: 8
    .kernarg_segment_size: 104
    .language:       OpenCL C
    .language_version:
      - 2
      - 0
    .max_flat_workgroup_size: 255
    .name:           bluestein_single_back_len1360_dim1_half_op_CI_CI
    .private_segment_fixed_size: 0
    .sgpr_count:     41
    .sgpr_spill_count: 0
    .symbol:         bluestein_single_back_len1360_dim1_half_op_CI_CI.kd
    .uniform_work_group_size: 1
    .uses_dynamic_stack: false
    .vgpr_count:     274
    .vgpr_spill_count: 0
    .wavefront_size: 64
amdhsa.target:   amdgcn-amd-amdhsa--gfx950
amdhsa.version:
  - 1
  - 2
...

	.end_amdgpu_metadata
